;; amdgpu-corpus repo=ROCm/rccl kind=compiled arch=gfx1100 opt=O3
	.text
	.amdgcn_target "amdgcn-amd-amdhsa--gfx1100"
	.amdhsa_code_object_version 6
	.p2align	2                               ; -- Begin function __ockl_fprintf_append_string_n
	.type	__ockl_fprintf_append_string_n,@function
__ockl_fprintf_append_string_n:         ; @__ockl_fprintf_append_string_n
; %bb.0:
	s_waitcnt vmcnt(0) expcnt(0) lgkmcnt(0)
	v_dual_mov_b32 v8, v3 :: v_dual_mov_b32 v7, v2
	v_or_b32_e32 v2, 2, v0
	v_cmp_eq_u32_e32 vcc_lo, 0, v6
	v_mbcnt_lo_u32_b32 v33, -1, 0
	s_mov_b32 s11, 0
	s_mov_b32 s0, exec_lo
	v_cndmask_b32_e32 v0, v2, v0, vcc_lo
	v_cmpx_ne_u64_e32 0, v[7:8]
	s_xor_b32 s10, exec_lo, s0
	s_cbranch_execz .LBB0_86
; %bb.1:
	s_load_b64 s[2:3], s[8:9], 0x50
	v_dual_mov_b32 v11, 2 :: v_dual_and_b32 v6, 2, v0
	v_mov_b32_e32 v10, 0
	v_and_b32_e32 v0, -3, v0
	v_mov_b32_e32 v12, 1
	s_mov_b32 s12, 0
	s_branch .LBB0_3
.LBB0_2:                                ;   in Loop: Header=BB0_3 Depth=1
	s_or_b32 exec_lo, exec_lo, s1
	v_sub_co_u32 v4, vcc_lo, v4, v29
	v_sub_co_ci_u32_e32 v5, vcc_lo, v5, v30, vcc_lo
	v_add_co_u32 v7, s0, v7, v29
	s_delay_alu instid0(VALU_DEP_1) | instskip(NEXT) | instid1(VALU_DEP_3)
	v_add_co_ci_u32_e64 v8, s0, v8, v30, s0
	v_cmp_eq_u64_e32 vcc_lo, 0, v[4:5]
	s_or_b32 s12, vcc_lo, s12
	s_delay_alu instid0(SALU_CYCLE_1)
	s_and_not1_b32 exec_lo, exec_lo, s12
	s_cbranch_execz .LBB0_85
.LBB0_3:                                ; =>This Loop Header: Depth=1
                                        ;     Child Loop BB0_6 Depth 2
                                        ;     Child Loop BB0_14 Depth 2
	;; [unrolled: 1-line block ×11, first 2 shown]
	v_cmp_gt_u64_e32 vcc_lo, 56, v[4:5]
	s_mov_b32 s1, exec_lo
                                        ; implicit-def: $vgpr2_vgpr3
                                        ; implicit-def: $sgpr4
	v_dual_cndmask_b32 v30, 0, v5 :: v_dual_cndmask_b32 v29, 56, v4
	v_cmpx_gt_u64_e32 8, v[4:5]
	s_xor_b32 s1, exec_lo, s1
	s_cbranch_execz .LBB0_9
; %bb.4:                                ;   in Loop: Header=BB0_3 Depth=1
	s_waitcnt vmcnt(0)
	v_mov_b32_e32 v2, 0
	v_mov_b32_e32 v3, 0
	s_mov_b64 s[4:5], 0
	s_mov_b32 s6, exec_lo
	v_cmpx_ne_u64_e32 0, v[4:5]
	s_cbranch_execz .LBB0_8
; %bb.5:                                ;   in Loop: Header=BB0_3 Depth=1
	v_lshlrev_b64 v[13:14], 3, v[29:30]
	v_dual_mov_b32 v2, 0 :: v_dual_mov_b32 v15, v8
	v_dual_mov_b32 v3, 0 :: v_dual_mov_b32 v14, v7
	s_mov_b32 s7, 0
	.p2align	6
.LBB0_6:                                ;   Parent Loop BB0_3 Depth=1
                                        ; =>  This Inner Loop Header: Depth=2
	flat_load_u8 v9, v[14:15]
	v_mov_b32_e32 v17, s11
	v_add_co_u32 v14, vcc_lo, v14, 1
	v_add_co_ci_u32_e32 v15, vcc_lo, 0, v15, vcc_lo
	s_waitcnt vmcnt(0) lgkmcnt(0)
	v_and_b32_e32 v16, 0xffff, v9
	s_delay_alu instid0(VALU_DEP_1) | instskip(SKIP_3) | instid1(VALU_DEP_2)
	v_lshlrev_b64 v[16:17], s4, v[16:17]
	s_add_u32 s4, s4, 8
	s_addc_u32 s5, s5, 0
	v_cmp_eq_u32_e64 s0, s4, v13
	v_or_b32_e32 v3, v17, v3
	s_delay_alu instid0(VALU_DEP_3) | instskip(NEXT) | instid1(VALU_DEP_3)
	v_or_b32_e32 v2, v16, v2
	s_or_b32 s7, s0, s7
	s_delay_alu instid0(SALU_CYCLE_1)
	s_and_not1_b32 exec_lo, exec_lo, s7
	s_cbranch_execnz .LBB0_6
; %bb.7:                                ;   in Loop: Header=BB0_3 Depth=1
	s_or_b32 exec_lo, exec_lo, s7
.LBB0_8:                                ;   in Loop: Header=BB0_3 Depth=1
	s_delay_alu instid0(SALU_CYCLE_1)
	s_or_b32 exec_lo, exec_lo, s6
	s_mov_b32 s4, 0
.LBB0_9:                                ;   in Loop: Header=BB0_3 Depth=1
	s_or_saveexec_b32 s0, s1
	v_dual_mov_b32 v9, s4 :: v_dual_mov_b32 v26, v8
	v_mov_b32_e32 v25, v7
	s_xor_b32 exec_lo, exec_lo, s0
	s_cbranch_execz .LBB0_11
; %bb.10:                               ;   in Loop: Header=BB0_3 Depth=1
	s_waitcnt vmcnt(0)
	flat_load_b64 v[2:3], v[7:8]
	v_add_co_u32 v25, vcc_lo, v7, 8
	v_add_co_ci_u32_e32 v26, vcc_lo, 0, v8, vcc_lo
	s_waitcnt vmcnt(0) lgkmcnt(0)
	v_and_b32_e32 v9, 0xff, v3
	v_and_b32_e32 v13, 0xff00, v3
	;; [unrolled: 1-line block ×4, first 2 shown]
	v_or3_b32 v2, v2, 0, 0
	s_delay_alu instid0(VALU_DEP_4) | instskip(SKIP_1) | instid1(VALU_DEP_2)
	v_or_b32_e32 v13, v9, v13
	v_add_nc_u32_e32 v9, -8, v29
	v_or3_b32 v3, v13, v14, v3
.LBB0_11:                               ;   in Loop: Header=BB0_3 Depth=1
	s_or_b32 exec_lo, exec_lo, s0
                                        ; implicit-def: $vgpr13_vgpr14
                                        ; implicit-def: $sgpr1
	s_delay_alu instid0(SALU_CYCLE_1) | instskip(NEXT) | instid1(VALU_DEP_2)
	s_mov_b32 s0, exec_lo
	v_cmpx_gt_u32_e32 8, v9
	s_xor_b32 s6, exec_lo, s0
	s_cbranch_execz .LBB0_17
; %bb.12:                               ;   in Loop: Header=BB0_3 Depth=1
	v_mov_b32_e32 v13, 0
	v_mov_b32_e32 v14, 0
	s_mov_b32 s7, exec_lo
	v_cmpx_ne_u32_e32 0, v9
	s_cbranch_execz .LBB0_16
; %bb.13:                               ;   in Loop: Header=BB0_3 Depth=1
	v_mov_b32_e32 v13, 0
	v_mov_b32_e32 v14, 0
	s_mov_b64 s[0:1], 0
	s_mov_b32 s13, 0
	s_mov_b64 s[4:5], 0
	.p2align	6
.LBB0_14:                               ;   Parent Loop BB0_3 Depth=1
                                        ; =>  This Inner Loop Header: Depth=2
	s_delay_alu instid0(SALU_CYCLE_1)
	v_add_co_u32 v15, vcc_lo, v25, s4
	v_add_co_ci_u32_e32 v16, vcc_lo, s5, v26, vcc_lo
	s_add_u32 s4, s4, 1
	s_addc_u32 s5, s5, 0
	v_cmp_eq_u32_e32 vcc_lo, s4, v9
	flat_load_u8 v15, v[15:16]
	s_waitcnt vmcnt(0) lgkmcnt(0)
	v_dual_mov_b32 v16, s11 :: v_dual_and_b32 v15, 0xffff, v15
	s_delay_alu instid0(VALU_DEP_1) | instskip(SKIP_3) | instid1(VALU_DEP_1)
	v_lshlrev_b64 v[15:16], s0, v[15:16]
	s_add_u32 s0, s0, 8
	s_addc_u32 s1, s1, 0
	s_or_b32 s13, vcc_lo, s13
	v_or_b32_e32 v14, v16, v14
	s_delay_alu instid0(VALU_DEP_2)
	v_or_b32_e32 v13, v15, v13
	s_and_not1_b32 exec_lo, exec_lo, s13
	s_cbranch_execnz .LBB0_14
; %bb.15:                               ;   in Loop: Header=BB0_3 Depth=1
	s_or_b32 exec_lo, exec_lo, s13
.LBB0_16:                               ;   in Loop: Header=BB0_3 Depth=1
	s_delay_alu instid0(SALU_CYCLE_1)
	s_or_b32 exec_lo, exec_lo, s7
	s_mov_b32 s1, 0
                                        ; implicit-def: $vgpr9
.LBB0_17:                               ;   in Loop: Header=BB0_3 Depth=1
	s_or_saveexec_b32 s0, s6
	v_mov_b32_e32 v17, s1
	s_xor_b32 exec_lo, exec_lo, s0
	s_cbranch_execz .LBB0_19
; %bb.18:                               ;   in Loop: Header=BB0_3 Depth=1
	flat_load_b64 v[13:14], v[25:26]
	v_add_co_u32 v25, vcc_lo, v25, 8
	v_add_nc_u32_e32 v17, -8, v9
	v_add_co_ci_u32_e32 v26, vcc_lo, 0, v26, vcc_lo
	s_waitcnt vmcnt(0) lgkmcnt(0)
	v_and_b32_e32 v15, 0xff, v14
	v_and_b32_e32 v16, 0xff00, v14
	;; [unrolled: 1-line block ×4, first 2 shown]
	v_or3_b32 v13, v13, 0, 0
	s_delay_alu instid0(VALU_DEP_4) | instskip(NEXT) | instid1(VALU_DEP_1)
	v_or_b32_e32 v15, v15, v16
	v_or3_b32 v14, v15, v18, v14
.LBB0_19:                               ;   in Loop: Header=BB0_3 Depth=1
	s_or_b32 exec_lo, exec_lo, s0
                                        ; implicit-def: $sgpr1
	s_delay_alu instid0(SALU_CYCLE_1)
	s_mov_b32 s0, exec_lo
	v_cmpx_gt_u32_e32 8, v17
	s_xor_b32 s6, exec_lo, s0
	s_cbranch_execz .LBB0_25
; %bb.20:                               ;   in Loop: Header=BB0_3 Depth=1
	v_mov_b32_e32 v15, 0
	v_mov_b32_e32 v16, 0
	s_mov_b32 s7, exec_lo
	v_cmpx_ne_u32_e32 0, v17
	s_cbranch_execz .LBB0_24
; %bb.21:                               ;   in Loop: Header=BB0_3 Depth=1
	v_mov_b32_e32 v15, 0
	v_mov_b32_e32 v16, 0
	s_mov_b64 s[0:1], 0
	s_mov_b32 s13, 0
	s_mov_b64 s[4:5], 0
	.p2align	6
.LBB0_22:                               ;   Parent Loop BB0_3 Depth=1
                                        ; =>  This Inner Loop Header: Depth=2
	s_delay_alu instid0(SALU_CYCLE_1)
	v_add_co_u32 v18, vcc_lo, v25, s4
	v_add_co_ci_u32_e32 v19, vcc_lo, s5, v26, vcc_lo
	s_add_u32 s4, s4, 1
	s_addc_u32 s5, s5, 0
	v_cmp_eq_u32_e32 vcc_lo, s4, v17
	flat_load_u8 v9, v[18:19]
	s_waitcnt vmcnt(0) lgkmcnt(0)
	v_dual_mov_b32 v19, s11 :: v_dual_and_b32 v18, 0xffff, v9
	s_delay_alu instid0(VALU_DEP_1) | instskip(SKIP_3) | instid1(VALU_DEP_1)
	v_lshlrev_b64 v[18:19], s0, v[18:19]
	s_add_u32 s0, s0, 8
	s_addc_u32 s1, s1, 0
	s_or_b32 s13, vcc_lo, s13
	v_or_b32_e32 v16, v19, v16
	s_delay_alu instid0(VALU_DEP_2)
	v_or_b32_e32 v15, v18, v15
	s_and_not1_b32 exec_lo, exec_lo, s13
	s_cbranch_execnz .LBB0_22
; %bb.23:                               ;   in Loop: Header=BB0_3 Depth=1
	s_or_b32 exec_lo, exec_lo, s13
.LBB0_24:                               ;   in Loop: Header=BB0_3 Depth=1
	s_delay_alu instid0(SALU_CYCLE_1)
	s_or_b32 exec_lo, exec_lo, s7
	s_mov_b32 s1, 0
                                        ; implicit-def: $vgpr17
.LBB0_25:                               ;   in Loop: Header=BB0_3 Depth=1
	s_or_saveexec_b32 s0, s6
	v_mov_b32_e32 v9, s1
	s_xor_b32 exec_lo, exec_lo, s0
	s_cbranch_execz .LBB0_27
; %bb.26:                               ;   in Loop: Header=BB0_3 Depth=1
	flat_load_b64 v[15:16], v[25:26]
	v_add_co_u32 v25, vcc_lo, v25, 8
	v_add_co_ci_u32_e32 v26, vcc_lo, 0, v26, vcc_lo
	s_waitcnt vmcnt(0) lgkmcnt(0)
	v_and_b32_e32 v9, 0xff, v16
	v_and_b32_e32 v18, 0xff00, v16
	;; [unrolled: 1-line block ×4, first 2 shown]
	v_or3_b32 v15, v15, 0, 0
	s_delay_alu instid0(VALU_DEP_4) | instskip(SKIP_1) | instid1(VALU_DEP_2)
	v_or_b32_e32 v18, v9, v18
	v_add_nc_u32_e32 v9, -8, v17
	v_or3_b32 v16, v18, v19, v16
.LBB0_27:                               ;   in Loop: Header=BB0_3 Depth=1
	s_or_b32 exec_lo, exec_lo, s0
                                        ; implicit-def: $vgpr17_vgpr18
                                        ; implicit-def: $sgpr1
	s_delay_alu instid0(SALU_CYCLE_1) | instskip(NEXT) | instid1(VALU_DEP_1)
	s_mov_b32 s0, exec_lo
	v_cmpx_gt_u32_e32 8, v9
	s_xor_b32 s6, exec_lo, s0
	s_cbranch_execz .LBB0_33
; %bb.28:                               ;   in Loop: Header=BB0_3 Depth=1
	v_mov_b32_e32 v17, 0
	v_mov_b32_e32 v18, 0
	s_mov_b32 s7, exec_lo
	v_cmpx_ne_u32_e32 0, v9
	s_cbranch_execz .LBB0_32
; %bb.29:                               ;   in Loop: Header=BB0_3 Depth=1
	v_mov_b32_e32 v17, 0
	v_mov_b32_e32 v18, 0
	s_mov_b64 s[0:1], 0
	s_mov_b32 s13, 0
	s_mov_b64 s[4:5], 0
	.p2align	6
.LBB0_30:                               ;   Parent Loop BB0_3 Depth=1
                                        ; =>  This Inner Loop Header: Depth=2
	s_delay_alu instid0(SALU_CYCLE_1)
	v_add_co_u32 v19, vcc_lo, v25, s4
	v_add_co_ci_u32_e32 v20, vcc_lo, s5, v26, vcc_lo
	s_add_u32 s4, s4, 1
	s_addc_u32 s5, s5, 0
	v_cmp_eq_u32_e32 vcc_lo, s4, v9
	flat_load_u8 v19, v[19:20]
	s_waitcnt vmcnt(0) lgkmcnt(0)
	v_dual_mov_b32 v20, s11 :: v_dual_and_b32 v19, 0xffff, v19
	s_delay_alu instid0(VALU_DEP_1) | instskip(SKIP_3) | instid1(VALU_DEP_1)
	v_lshlrev_b64 v[19:20], s0, v[19:20]
	s_add_u32 s0, s0, 8
	s_addc_u32 s1, s1, 0
	s_or_b32 s13, vcc_lo, s13
	v_or_b32_e32 v18, v20, v18
	s_delay_alu instid0(VALU_DEP_2)
	v_or_b32_e32 v17, v19, v17
	s_and_not1_b32 exec_lo, exec_lo, s13
	s_cbranch_execnz .LBB0_30
; %bb.31:                               ;   in Loop: Header=BB0_3 Depth=1
	s_or_b32 exec_lo, exec_lo, s13
.LBB0_32:                               ;   in Loop: Header=BB0_3 Depth=1
	s_delay_alu instid0(SALU_CYCLE_1)
	s_or_b32 exec_lo, exec_lo, s7
	s_mov_b32 s1, 0
                                        ; implicit-def: $vgpr9
.LBB0_33:                               ;   in Loop: Header=BB0_3 Depth=1
	s_or_saveexec_b32 s0, s6
	v_mov_b32_e32 v21, s1
	s_xor_b32 exec_lo, exec_lo, s0
	s_cbranch_execz .LBB0_35
; %bb.34:                               ;   in Loop: Header=BB0_3 Depth=1
	flat_load_b64 v[17:18], v[25:26]
	v_add_co_u32 v25, vcc_lo, v25, 8
	v_add_nc_u32_e32 v21, -8, v9
	v_add_co_ci_u32_e32 v26, vcc_lo, 0, v26, vcc_lo
	s_waitcnt vmcnt(0) lgkmcnt(0)
	v_and_b32_e32 v19, 0xff, v18
	v_and_b32_e32 v20, 0xff00, v18
	;; [unrolled: 1-line block ×4, first 2 shown]
	v_or3_b32 v17, v17, 0, 0
	s_delay_alu instid0(VALU_DEP_4) | instskip(NEXT) | instid1(VALU_DEP_1)
	v_or_b32_e32 v19, v19, v20
	v_or3_b32 v18, v19, v22, v18
.LBB0_35:                               ;   in Loop: Header=BB0_3 Depth=1
	s_or_b32 exec_lo, exec_lo, s0
                                        ; implicit-def: $sgpr1
	s_delay_alu instid0(SALU_CYCLE_1)
	s_mov_b32 s0, exec_lo
	v_cmpx_gt_u32_e32 8, v21
	s_xor_b32 s6, exec_lo, s0
	s_cbranch_execz .LBB0_41
; %bb.36:                               ;   in Loop: Header=BB0_3 Depth=1
	v_mov_b32_e32 v19, 0
	v_mov_b32_e32 v20, 0
	s_mov_b32 s7, exec_lo
	v_cmpx_ne_u32_e32 0, v21
	s_cbranch_execz .LBB0_40
; %bb.37:                               ;   in Loop: Header=BB0_3 Depth=1
	v_mov_b32_e32 v19, 0
	v_mov_b32_e32 v20, 0
	s_mov_b64 s[0:1], 0
	s_mov_b32 s13, 0
	s_mov_b64 s[4:5], 0
	.p2align	6
.LBB0_38:                               ;   Parent Loop BB0_3 Depth=1
                                        ; =>  This Inner Loop Header: Depth=2
	s_delay_alu instid0(SALU_CYCLE_1)
	v_add_co_u32 v22, vcc_lo, v25, s4
	v_add_co_ci_u32_e32 v23, vcc_lo, s5, v26, vcc_lo
	s_add_u32 s4, s4, 1
	s_addc_u32 s5, s5, 0
	v_cmp_eq_u32_e32 vcc_lo, s4, v21
	flat_load_u8 v9, v[22:23]
	s_waitcnt vmcnt(0) lgkmcnt(0)
	v_dual_mov_b32 v23, s11 :: v_dual_and_b32 v22, 0xffff, v9
	s_delay_alu instid0(VALU_DEP_1) | instskip(SKIP_3) | instid1(VALU_DEP_1)
	v_lshlrev_b64 v[22:23], s0, v[22:23]
	s_add_u32 s0, s0, 8
	s_addc_u32 s1, s1, 0
	s_or_b32 s13, vcc_lo, s13
	v_or_b32_e32 v20, v23, v20
	s_delay_alu instid0(VALU_DEP_2)
	v_or_b32_e32 v19, v22, v19
	s_and_not1_b32 exec_lo, exec_lo, s13
	s_cbranch_execnz .LBB0_38
; %bb.39:                               ;   in Loop: Header=BB0_3 Depth=1
	s_or_b32 exec_lo, exec_lo, s13
.LBB0_40:                               ;   in Loop: Header=BB0_3 Depth=1
	s_delay_alu instid0(SALU_CYCLE_1)
	s_or_b32 exec_lo, exec_lo, s7
	s_mov_b32 s1, 0
                                        ; implicit-def: $vgpr21
.LBB0_41:                               ;   in Loop: Header=BB0_3 Depth=1
	s_or_saveexec_b32 s0, s6
	v_mov_b32_e32 v9, s1
	s_xor_b32 exec_lo, exec_lo, s0
	s_cbranch_execz .LBB0_43
; %bb.42:                               ;   in Loop: Header=BB0_3 Depth=1
	flat_load_b64 v[19:20], v[25:26]
	v_add_co_u32 v25, vcc_lo, v25, 8
	v_add_co_ci_u32_e32 v26, vcc_lo, 0, v26, vcc_lo
	s_waitcnt vmcnt(0) lgkmcnt(0)
	v_and_b32_e32 v9, 0xff, v20
	v_and_b32_e32 v22, 0xff00, v20
	;; [unrolled: 1-line block ×4, first 2 shown]
	v_or3_b32 v19, v19, 0, 0
	s_delay_alu instid0(VALU_DEP_4) | instskip(SKIP_1) | instid1(VALU_DEP_2)
	v_or_b32_e32 v22, v9, v22
	v_add_nc_u32_e32 v9, -8, v21
	v_or3_b32 v20, v22, v23, v20
.LBB0_43:                               ;   in Loop: Header=BB0_3 Depth=1
	s_or_b32 exec_lo, exec_lo, s0
                                        ; implicit-def: $vgpr21_vgpr22
                                        ; implicit-def: $sgpr1
	s_delay_alu instid0(SALU_CYCLE_1) | instskip(NEXT) | instid1(VALU_DEP_1)
	s_mov_b32 s0, exec_lo
	v_cmpx_gt_u32_e32 8, v9
	s_xor_b32 s6, exec_lo, s0
	s_cbranch_execz .LBB0_49
; %bb.44:                               ;   in Loop: Header=BB0_3 Depth=1
	v_mov_b32_e32 v21, 0
	v_mov_b32_e32 v22, 0
	s_mov_b32 s7, exec_lo
	v_cmpx_ne_u32_e32 0, v9
	s_cbranch_execz .LBB0_48
; %bb.45:                               ;   in Loop: Header=BB0_3 Depth=1
	v_mov_b32_e32 v21, 0
	v_mov_b32_e32 v22, 0
	s_mov_b64 s[0:1], 0
	s_mov_b32 s13, 0
	s_mov_b64 s[4:5], 0
	.p2align	6
.LBB0_46:                               ;   Parent Loop BB0_3 Depth=1
                                        ; =>  This Inner Loop Header: Depth=2
	s_delay_alu instid0(SALU_CYCLE_1)
	v_add_co_u32 v23, vcc_lo, v25, s4
	v_add_co_ci_u32_e32 v24, vcc_lo, s5, v26, vcc_lo
	s_add_u32 s4, s4, 1
	s_addc_u32 s5, s5, 0
	v_cmp_eq_u32_e32 vcc_lo, s4, v9
	flat_load_u8 v23, v[23:24]
	s_waitcnt vmcnt(0) lgkmcnt(0)
	v_dual_mov_b32 v24, s11 :: v_dual_and_b32 v23, 0xffff, v23
	s_delay_alu instid0(VALU_DEP_1) | instskip(SKIP_3) | instid1(VALU_DEP_1)
	v_lshlrev_b64 v[23:24], s0, v[23:24]
	s_add_u32 s0, s0, 8
	s_addc_u32 s1, s1, 0
	s_or_b32 s13, vcc_lo, s13
	v_or_b32_e32 v22, v24, v22
	s_delay_alu instid0(VALU_DEP_2)
	v_or_b32_e32 v21, v23, v21
	s_and_not1_b32 exec_lo, exec_lo, s13
	s_cbranch_execnz .LBB0_46
; %bb.47:                               ;   in Loop: Header=BB0_3 Depth=1
	s_or_b32 exec_lo, exec_lo, s13
.LBB0_48:                               ;   in Loop: Header=BB0_3 Depth=1
	s_delay_alu instid0(SALU_CYCLE_1)
	s_or_b32 exec_lo, exec_lo, s7
	s_mov_b32 s1, 0
                                        ; implicit-def: $vgpr9
.LBB0_49:                               ;   in Loop: Header=BB0_3 Depth=1
	s_or_saveexec_b32 s0, s6
	v_mov_b32_e32 v27, s1
	s_xor_b32 exec_lo, exec_lo, s0
	s_cbranch_execz .LBB0_51
; %bb.50:                               ;   in Loop: Header=BB0_3 Depth=1
	flat_load_b64 v[21:22], v[25:26]
	v_add_co_u32 v25, vcc_lo, v25, 8
	v_add_nc_u32_e32 v27, -8, v9
	v_add_co_ci_u32_e32 v26, vcc_lo, 0, v26, vcc_lo
	s_waitcnt vmcnt(0) lgkmcnt(0)
	v_and_b32_e32 v23, 0xff, v22
	v_and_b32_e32 v24, 0xff00, v22
	;; [unrolled: 1-line block ×4, first 2 shown]
	v_or3_b32 v21, v21, 0, 0
	s_delay_alu instid0(VALU_DEP_4) | instskip(NEXT) | instid1(VALU_DEP_1)
	v_or_b32_e32 v23, v23, v24
	v_or3_b32 v22, v23, v28, v22
.LBB0_51:                               ;   in Loop: Header=BB0_3 Depth=1
	s_or_b32 exec_lo, exec_lo, s0
	s_delay_alu instid0(SALU_CYCLE_1)
	s_mov_b32 s0, exec_lo
	v_cmpx_gt_u32_e32 8, v27
	s_xor_b32 s4, exec_lo, s0
	s_cbranch_execz .LBB0_57
; %bb.52:                               ;   in Loop: Header=BB0_3 Depth=1
	v_mov_b32_e32 v23, 0
	v_mov_b32_e32 v24, 0
	s_mov_b32 s5, exec_lo
	v_cmpx_ne_u32_e32 0, v27
	s_cbranch_execz .LBB0_56
; %bb.53:                               ;   in Loop: Header=BB0_3 Depth=1
	v_mov_b32_e32 v23, 0
	v_mov_b32_e32 v24, 0
	s_mov_b64 s[0:1], 0
	s_mov_b32 s6, 0
	.p2align	6
.LBB0_54:                               ;   Parent Loop BB0_3 Depth=1
                                        ; =>  This Inner Loop Header: Depth=2
	flat_load_u8 v9, v[25:26]
	v_dual_mov_b32 v32, s11 :: v_dual_add_nc_u32 v27, -1, v27
	v_add_co_u32 v25, vcc_lo, v25, 1
	v_add_co_ci_u32_e32 v26, vcc_lo, 0, v26, vcc_lo
	s_delay_alu instid0(VALU_DEP_3) | instskip(SKIP_2) | instid1(VALU_DEP_1)
	v_cmp_eq_u32_e32 vcc_lo, 0, v27
	s_waitcnt vmcnt(0) lgkmcnt(0)
	v_and_b32_e32 v31, 0xffff, v9
	v_lshlrev_b64 v[31:32], s0, v[31:32]
	s_add_u32 s0, s0, 8
	s_addc_u32 s1, s1, 0
	s_or_b32 s6, vcc_lo, s6
	s_delay_alu instid0(VALU_DEP_1) | instskip(NEXT) | instid1(VALU_DEP_2)
	v_or_b32_e32 v24, v32, v24
	v_or_b32_e32 v23, v31, v23
	s_and_not1_b32 exec_lo, exec_lo, s6
	s_cbranch_execnz .LBB0_54
; %bb.55:                               ;   in Loop: Header=BB0_3 Depth=1
	s_or_b32 exec_lo, exec_lo, s6
.LBB0_56:                               ;   in Loop: Header=BB0_3 Depth=1
	s_delay_alu instid0(SALU_CYCLE_1)
	s_or_b32 exec_lo, exec_lo, s5
                                        ; implicit-def: $vgpr25_vgpr26
.LBB0_57:                               ;   in Loop: Header=BB0_3 Depth=1
	s_and_not1_saveexec_b32 s0, s4
	s_cbranch_execz .LBB0_59
; %bb.58:                               ;   in Loop: Header=BB0_3 Depth=1
	flat_load_b64 v[23:24], v[25:26]
	s_waitcnt vmcnt(0) lgkmcnt(0)
	v_and_b32_e32 v9, 0xff, v24
	v_and_b32_e32 v25, 0xff00, v24
	;; [unrolled: 1-line block ×4, first 2 shown]
	v_or3_b32 v23, v23, 0, 0
	s_delay_alu instid0(VALU_DEP_4) | instskip(NEXT) | instid1(VALU_DEP_1)
	v_or_b32_e32 v9, v9, v25
	v_or3_b32 v24, v9, v26, v24
.LBB0_59:                               ;   in Loop: Header=BB0_3 Depth=1
	s_or_b32 exec_lo, exec_lo, s0
	v_readfirstlane_b32 s0, v33
	v_mov_b32_e32 v31, 0
	v_mov_b32_e32 v32, 0
	s_delay_alu instid0(VALU_DEP_3) | instskip(NEXT) | instid1(VALU_DEP_1)
	v_cmp_eq_u32_e64 s0, s0, v33
	s_and_saveexec_b32 s1, s0
	s_cbranch_execz .LBB0_65
; %bb.60:                               ;   in Loop: Header=BB0_3 Depth=1
	s_waitcnt lgkmcnt(0)
	global_load_b64 v[27:28], v10, s[2:3] offset:24 glc
	s_waitcnt vmcnt(0)
	buffer_gl1_inv
	buffer_gl0_inv
	s_clause 0x1
	global_load_b64 v[25:26], v10, s[2:3] offset:40
	global_load_b64 v[31:32], v10, s[2:3]
	s_mov_b32 s4, exec_lo
	s_waitcnt vmcnt(1)
	v_and_b32_e32 v9, v26, v28
	v_and_b32_e32 v25, v25, v27
	s_delay_alu instid0(VALU_DEP_2) | instskip(NEXT) | instid1(VALU_DEP_2)
	v_mul_lo_u32 v9, v9, 24
	v_mul_hi_u32 v26, v25, 24
	v_mul_lo_u32 v25, v25, 24
	s_delay_alu instid0(VALU_DEP_2) | instskip(SKIP_1) | instid1(VALU_DEP_2)
	v_add_nc_u32_e32 v9, v26, v9
	s_waitcnt vmcnt(0)
	v_add_co_u32 v25, vcc_lo, v31, v25
	s_delay_alu instid0(VALU_DEP_2)
	v_add_co_ci_u32_e32 v26, vcc_lo, v32, v9, vcc_lo
	global_load_b64 v[25:26], v[25:26], off glc
	s_waitcnt vmcnt(0)
	global_atomic_cmpswap_b64 v[31:32], v10, v[25:28], s[2:3] offset:24 glc
	s_waitcnt vmcnt(0)
	buffer_gl1_inv
	buffer_gl0_inv
	v_cmpx_ne_u64_e64 v[31:32], v[27:28]
	s_cbranch_execz .LBB0_64
; %bb.61:                               ;   in Loop: Header=BB0_3 Depth=1
	s_mov_b32 s5, 0
	.p2align	6
.LBB0_62:                               ;   Parent Loop BB0_3 Depth=1
                                        ; =>  This Inner Loop Header: Depth=2
	s_sleep 1
	s_clause 0x1
	global_load_b64 v[25:26], v10, s[2:3] offset:40
	global_load_b64 v[34:35], v10, s[2:3]
	v_dual_mov_b32 v27, v31 :: v_dual_mov_b32 v28, v32
	s_waitcnt vmcnt(1)
	s_delay_alu instid0(VALU_DEP_1) | instskip(SKIP_1) | instid1(VALU_DEP_1)
	v_and_b32_e32 v9, v25, v27
	s_waitcnt vmcnt(0)
	v_mad_u64_u32 v[31:32], null, v9, 24, v[34:35]
	s_delay_alu instid0(VALU_DEP_1) | instskip(NEXT) | instid1(VALU_DEP_1)
	v_dual_mov_b32 v9, v32 :: v_dual_and_b32 v34, v26, v28
	v_mad_u64_u32 v[25:26], null, v34, 24, v[9:10]
	s_delay_alu instid0(VALU_DEP_1)
	v_mov_b32_e32 v32, v25
	global_load_b64 v[25:26], v[31:32], off glc
	s_waitcnt vmcnt(0)
	global_atomic_cmpswap_b64 v[31:32], v10, v[25:28], s[2:3] offset:24 glc
	s_waitcnt vmcnt(0)
	buffer_gl1_inv
	buffer_gl0_inv
	v_cmp_eq_u64_e32 vcc_lo, v[31:32], v[27:28]
	s_or_b32 s5, vcc_lo, s5
	s_delay_alu instid0(SALU_CYCLE_1)
	s_and_not1_b32 exec_lo, exec_lo, s5
	s_cbranch_execnz .LBB0_62
; %bb.63:                               ;   in Loop: Header=BB0_3 Depth=1
	s_or_b32 exec_lo, exec_lo, s5
.LBB0_64:                               ;   in Loop: Header=BB0_3 Depth=1
	s_delay_alu instid0(SALU_CYCLE_1)
	s_or_b32 exec_lo, exec_lo, s4
.LBB0_65:                               ;   in Loop: Header=BB0_3 Depth=1
	s_delay_alu instid0(SALU_CYCLE_1)
	s_or_b32 exec_lo, exec_lo, s1
	s_waitcnt lgkmcnt(0)
	s_clause 0x1
	global_load_b64 v[34:35], v10, s[2:3] offset:40
	global_load_b128 v[25:28], v10, s[2:3]
	v_readfirstlane_b32 s4, v31
	v_readfirstlane_b32 s5, v32
	s_mov_b32 s1, exec_lo
	s_waitcnt vmcnt(1)
	v_readfirstlane_b32 s6, v34
	v_readfirstlane_b32 s7, v35
	s_delay_alu instid0(VALU_DEP_1) | instskip(NEXT) | instid1(SALU_CYCLE_1)
	s_and_b64 s[6:7], s[4:5], s[6:7]
	s_mul_i32 s13, s7, 24
	s_mul_hi_u32 s14, s6, 24
	s_mul_i32 s15, s6, 24
	s_add_i32 s14, s14, s13
	s_waitcnt vmcnt(0)
	v_add_co_u32 v31, vcc_lo, v25, s15
	v_add_co_ci_u32_e32 v32, vcc_lo, s14, v26, vcc_lo
	s_and_saveexec_b32 s13, s0
	s_cbranch_execz .LBB0_67
; %bb.66:                               ;   in Loop: Header=BB0_3 Depth=1
	v_mov_b32_e32 v9, s1
	global_store_b128 v[31:32], v[9:12], off offset:8
.LBB0_67:                               ;   in Loop: Header=BB0_3 Depth=1
	s_or_b32 exec_lo, exec_lo, s13
	v_cmp_lt_u64_e32 vcc_lo, 56, v[4:5]
	v_or_b32_e32 v9, 0, v1
	v_or_b32_e32 v34, v0, v6
	v_lshl_add_u32 v35, v29, 2, 28
	s_lshl_b64 s[6:7], s[6:7], 12
	s_delay_alu instid0(SALU_CYCLE_1) | instskip(NEXT) | instid1(VALU_DEP_1)
	v_add_co_u32 v27, s1, v27, s6
	v_add_co_ci_u32_e64 v28, s1, s7, v28, s1
	v_dual_cndmask_b32 v1, v9, v1 :: v_dual_cndmask_b32 v0, v34, v0
	v_and_b32_e32 v9, 0x1e0, v35
	v_lshlrev_b32_e32 v34, 6, v33
	v_readfirstlane_b32 s6, v27
	v_readfirstlane_b32 s7, v28
	s_delay_alu instid0(VALU_DEP_4)
	v_and_or_b32 v0, 0xffffff1f, v0, v9
	s_clause 0x3
	global_store_b128 v34, v[0:3], s[6:7]
	global_store_b128 v34, v[13:16], s[6:7] offset:16
	global_store_b128 v34, v[17:20], s[6:7] offset:32
	;; [unrolled: 1-line block ×3, first 2 shown]
	s_and_saveexec_b32 s1, s0
	s_cbranch_execz .LBB0_75
; %bb.68:                               ;   in Loop: Header=BB0_3 Depth=1
	s_clause 0x1
	global_load_b64 v[17:18], v10, s[2:3] offset:32 glc
	global_load_b64 v[0:1], v10, s[2:3] offset:40
	v_dual_mov_b32 v15, s4 :: v_dual_mov_b32 v16, s5
	s_waitcnt vmcnt(0)
	v_readfirstlane_b32 s6, v0
	v_readfirstlane_b32 s7, v1
	s_delay_alu instid0(VALU_DEP_1) | instskip(NEXT) | instid1(SALU_CYCLE_1)
	s_and_b64 s[6:7], s[6:7], s[4:5]
	s_mul_i32 s7, s7, 24
	s_mul_hi_u32 s13, s6, 24
	s_mul_i32 s6, s6, 24
	s_add_i32 s13, s13, s7
	v_add_co_u32 v13, vcc_lo, v25, s6
	v_add_co_ci_u32_e32 v14, vcc_lo, s13, v26, vcc_lo
	s_mov_b32 s6, exec_lo
	global_store_b64 v[13:14], v[17:18], off
	s_waitcnt_vscnt null, 0x0
	global_atomic_cmpswap_b64 v[2:3], v10, v[15:18], s[2:3] offset:32 glc
	s_waitcnt vmcnt(0)
	v_cmpx_ne_u64_e64 v[2:3], v[17:18]
	s_cbranch_execz .LBB0_71
; %bb.69:                               ;   in Loop: Header=BB0_3 Depth=1
	s_mov_b32 s7, 0
.LBB0_70:                               ;   Parent Loop BB0_3 Depth=1
                                        ; =>  This Inner Loop Header: Depth=2
	v_dual_mov_b32 v0, s4 :: v_dual_mov_b32 v1, s5
	s_sleep 1
	global_store_b64 v[13:14], v[2:3], off
	s_waitcnt_vscnt null, 0x0
	global_atomic_cmpswap_b64 v[0:1], v10, v[0:3], s[2:3] offset:32 glc
	s_waitcnt vmcnt(0)
	v_cmp_eq_u64_e32 vcc_lo, v[0:1], v[2:3]
	v_dual_mov_b32 v3, v1 :: v_dual_mov_b32 v2, v0
	s_or_b32 s7, vcc_lo, s7
	s_delay_alu instid0(SALU_CYCLE_1)
	s_and_not1_b32 exec_lo, exec_lo, s7
	s_cbranch_execnz .LBB0_70
.LBB0_71:                               ;   in Loop: Header=BB0_3 Depth=1
	s_or_b32 exec_lo, exec_lo, s6
	global_load_b64 v[0:1], v10, s[2:3] offset:16
	s_mov_b32 s7, exec_lo
	s_mov_b32 s6, exec_lo
	v_mbcnt_lo_u32_b32 v2, s7, 0
	s_delay_alu instid0(VALU_DEP_1)
	v_cmpx_eq_u32_e32 0, v2
	s_cbranch_execz .LBB0_73
; %bb.72:                               ;   in Loop: Header=BB0_3 Depth=1
	s_bcnt1_i32_b32 s7, s7
	s_delay_alu instid0(SALU_CYCLE_1)
	v_mov_b32_e32 v9, s7
	s_waitcnt vmcnt(0)
	global_atomic_add_u64 v[0:1], v[9:10], off offset:8
.LBB0_73:                               ;   in Loop: Header=BB0_3 Depth=1
	s_or_b32 exec_lo, exec_lo, s6
	s_waitcnt vmcnt(0)
	global_load_b64 v[2:3], v[0:1], off offset:16
	s_waitcnt vmcnt(0)
	v_cmp_eq_u64_e32 vcc_lo, 0, v[2:3]
	s_cbranch_vccnz .LBB0_75
; %bb.74:                               ;   in Loop: Header=BB0_3 Depth=1
	global_load_b32 v9, v[0:1], off offset:24
	s_waitcnt vmcnt(0)
	v_and_b32_e32 v0, 0xffffff, v9
	s_waitcnt_vscnt null, 0x0
	global_store_b64 v[2:3], v[9:10], off
	v_readfirstlane_b32 m0, v0
	s_sendmsg sendmsg(MSG_INTERRUPT)
.LBB0_75:                               ;   in Loop: Header=BB0_3 Depth=1
	s_or_b32 exec_lo, exec_lo, s1
	v_add_co_u32 v0, vcc_lo, v27, v34
	v_add_co_ci_u32_e32 v1, vcc_lo, 0, v28, vcc_lo
	s_branch .LBB0_79
	.p2align	6
.LBB0_76:                               ;   in Loop: Header=BB0_79 Depth=2
	s_or_b32 exec_lo, exec_lo, s1
	s_delay_alu instid0(VALU_DEP_1) | instskip(NEXT) | instid1(VALU_DEP_1)
	v_readfirstlane_b32 s1, v2
	s_cmp_eq_u32 s1, 0
	s_cbranch_scc1 .LBB0_78
; %bb.77:                               ;   in Loop: Header=BB0_79 Depth=2
	s_sleep 1
	s_cbranch_execnz .LBB0_79
	s_branch .LBB0_81
	.p2align	6
.LBB0_78:                               ;   in Loop: Header=BB0_3 Depth=1
	s_branch .LBB0_81
.LBB0_79:                               ;   Parent Loop BB0_3 Depth=1
                                        ; =>  This Inner Loop Header: Depth=2
	v_mov_b32_e32 v2, 1
	s_and_saveexec_b32 s1, s0
	s_cbranch_execz .LBB0_76
; %bb.80:                               ;   in Loop: Header=BB0_79 Depth=2
	global_load_b32 v2, v[31:32], off offset:20 glc
	s_waitcnt vmcnt(0)
	buffer_gl1_inv
	buffer_gl0_inv
	v_and_b32_e32 v2, 1, v2
	s_branch .LBB0_76
.LBB0_81:                               ;   in Loop: Header=BB0_3 Depth=1
	global_load_b128 v[0:3], v[0:1], off
	s_and_saveexec_b32 s1, s0
	s_cbranch_execz .LBB0_2
; %bb.82:                               ;   in Loop: Header=BB0_3 Depth=1
	s_clause 0x2
	global_load_b64 v[2:3], v10, s[2:3] offset:40
	global_load_b64 v[17:18], v10, s[2:3] offset:24 glc
	global_load_b64 v[15:16], v10, s[2:3]
	s_waitcnt vmcnt(2)
	v_add_co_u32 v9, vcc_lo, v2, 1
	v_add_co_ci_u32_e32 v19, vcc_lo, 0, v3, vcc_lo
	s_delay_alu instid0(VALU_DEP_2) | instskip(NEXT) | instid1(VALU_DEP_2)
	v_add_co_u32 v13, vcc_lo, v9, s4
	v_add_co_ci_u32_e32 v14, vcc_lo, s5, v19, vcc_lo
	s_delay_alu instid0(VALU_DEP_1) | instskip(SKIP_1) | instid1(VALU_DEP_1)
	v_cmp_eq_u64_e32 vcc_lo, 0, v[13:14]
	v_dual_cndmask_b32 v14, v14, v19 :: v_dual_cndmask_b32 v13, v13, v9
	v_and_b32_e32 v3, v14, v3
	s_delay_alu instid0(VALU_DEP_2) | instskip(NEXT) | instid1(VALU_DEP_2)
	v_and_b32_e32 v2, v13, v2
	v_mul_lo_u32 v3, v3, 24
	s_delay_alu instid0(VALU_DEP_2) | instskip(SKIP_1) | instid1(VALU_DEP_2)
	v_mul_hi_u32 v9, v2, 24
	v_mul_lo_u32 v2, v2, 24
	v_add_nc_u32_e32 v3, v9, v3
	s_waitcnt vmcnt(0)
	s_delay_alu instid0(VALU_DEP_2) | instskip(SKIP_1) | instid1(VALU_DEP_3)
	v_add_co_u32 v2, vcc_lo, v15, v2
	v_mov_b32_e32 v15, v17
	v_add_co_ci_u32_e32 v3, vcc_lo, v16, v3, vcc_lo
	v_mov_b32_e32 v16, v18
	global_store_b64 v[2:3], v[17:18], off
	s_waitcnt_vscnt null, 0x0
	global_atomic_cmpswap_b64 v[15:16], v10, v[13:16], s[2:3] offset:24 glc
	s_waitcnt vmcnt(0)
	v_cmp_ne_u64_e32 vcc_lo, v[15:16], v[17:18]
	s_and_b32 exec_lo, exec_lo, vcc_lo
	s_cbranch_execz .LBB0_2
; %bb.83:                               ;   in Loop: Header=BB0_3 Depth=1
	s_mov_b32 s0, 0
.LBB0_84:                               ;   Parent Loop BB0_3 Depth=1
                                        ; =>  This Inner Loop Header: Depth=2
	s_sleep 1
	global_store_b64 v[2:3], v[15:16], off
	s_waitcnt_vscnt null, 0x0
	global_atomic_cmpswap_b64 v[17:18], v10, v[13:16], s[2:3] offset:24 glc
	s_waitcnt vmcnt(0)
	v_cmp_eq_u64_e32 vcc_lo, v[17:18], v[15:16]
	v_dual_mov_b32 v15, v17 :: v_dual_mov_b32 v16, v18
	s_or_b32 s0, vcc_lo, s0
	s_delay_alu instid0(SALU_CYCLE_1)
	s_and_not1_b32 exec_lo, exec_lo, s0
	s_cbranch_execnz .LBB0_84
	s_branch .LBB0_2
.LBB0_85:
	s_or_b32 exec_lo, exec_lo, s12
                                        ; implicit-def: $vgpr0
                                        ; implicit-def: $vgpr33
                                        ; implicit-def: $vgpr1
.LBB0_86:
	s_and_not1_saveexec_b32 s1, s10
	s_cbranch_execz .LBB0_108
; %bb.87:
	s_load_b64 s[2:3], s[8:9], 0x50
	v_readfirstlane_b32 s0, v33
	v_mov_b32_e32 v8, 0
	v_mov_b32_e32 v9, 0
	s_delay_alu instid0(VALU_DEP_3) | instskip(NEXT) | instid1(VALU_DEP_1)
	v_cmp_eq_u32_e64 s0, s0, v33
	s_and_saveexec_b32 s4, s0
	s_cbranch_execz .LBB0_93
; %bb.88:
	s_waitcnt vmcnt(0)
	v_mov_b32_e32 v2, 0
	s_mov_b32 s5, exec_lo
	s_waitcnt lgkmcnt(0)
	global_load_b64 v[5:6], v2, s[2:3] offset:24 glc
	s_waitcnt vmcnt(0)
	buffer_gl1_inv
	buffer_gl0_inv
	s_clause 0x1
	global_load_b64 v[3:4], v2, s[2:3] offset:40
	global_load_b64 v[7:8], v2, s[2:3]
	s_waitcnt vmcnt(1)
	v_and_b32_e32 v3, v3, v5
	v_and_b32_e32 v4, v4, v6
	s_delay_alu instid0(VALU_DEP_2) | instskip(NEXT) | instid1(VALU_DEP_2)
	v_mul_hi_u32 v9, v3, 24
	v_mul_lo_u32 v4, v4, 24
	v_mul_lo_u32 v3, v3, 24
	s_delay_alu instid0(VALU_DEP_2) | instskip(SKIP_1) | instid1(VALU_DEP_2)
	v_add_nc_u32_e32 v4, v9, v4
	s_waitcnt vmcnt(0)
	v_add_co_u32 v3, vcc_lo, v7, v3
	s_delay_alu instid0(VALU_DEP_2)
	v_add_co_ci_u32_e32 v4, vcc_lo, v8, v4, vcc_lo
	global_load_b64 v[3:4], v[3:4], off glc
	s_waitcnt vmcnt(0)
	global_atomic_cmpswap_b64 v[8:9], v2, v[3:6], s[2:3] offset:24 glc
	s_waitcnt vmcnt(0)
	buffer_gl1_inv
	buffer_gl0_inv
	v_cmpx_ne_u64_e64 v[8:9], v[5:6]
	s_cbranch_execz .LBB0_92
; %bb.89:
	s_mov_b32 s6, 0
	.p2align	6
.LBB0_90:                               ; =>This Inner Loop Header: Depth=1
	s_sleep 1
	s_clause 0x1
	global_load_b64 v[3:4], v2, s[2:3] offset:40
	global_load_b64 v[10:11], v2, s[2:3]
	v_dual_mov_b32 v5, v8 :: v_dual_mov_b32 v6, v9
	s_waitcnt vmcnt(1)
	s_delay_alu instid0(VALU_DEP_1) | instskip(NEXT) | instid1(VALU_DEP_2)
	v_and_b32_e32 v3, v3, v5
	v_and_b32_e32 v4, v4, v6
	s_waitcnt vmcnt(0)
	s_delay_alu instid0(VALU_DEP_2) | instskip(NEXT) | instid1(VALU_DEP_1)
	v_mad_u64_u32 v[7:8], null, v3, 24, v[10:11]
	v_mov_b32_e32 v3, v8
	s_delay_alu instid0(VALU_DEP_1)
	v_mad_u64_u32 v[8:9], null, v4, 24, v[3:4]
	global_load_b64 v[3:4], v[7:8], off glc
	s_waitcnt vmcnt(0)
	global_atomic_cmpswap_b64 v[8:9], v2, v[3:6], s[2:3] offset:24 glc
	s_waitcnt vmcnt(0)
	buffer_gl1_inv
	buffer_gl0_inv
	v_cmp_eq_u64_e32 vcc_lo, v[8:9], v[5:6]
	s_or_b32 s6, vcc_lo, s6
	s_delay_alu instid0(SALU_CYCLE_1)
	s_and_not1_b32 exec_lo, exec_lo, s6
	s_cbranch_execnz .LBB0_90
; %bb.91:
	s_or_b32 exec_lo, exec_lo, s6
.LBB0_92:
	s_delay_alu instid0(SALU_CYCLE_1)
	s_or_b32 exec_lo, exec_lo, s5
.LBB0_93:
	s_delay_alu instid0(SALU_CYCLE_1)
	s_or_b32 exec_lo, exec_lo, s4
	s_waitcnt vmcnt(0)
	v_mov_b32_e32 v2, 0
	v_readfirstlane_b32 s4, v8
	v_readfirstlane_b32 s5, v9
	s_mov_b32 s8, exec_lo
	s_waitcnt lgkmcnt(0)
	s_clause 0x1
	global_load_b64 v[10:11], v2, s[2:3] offset:40
	global_load_b128 v[4:7], v2, s[2:3]
	s_waitcnt vmcnt(1)
	v_readfirstlane_b32 s6, v10
	v_readfirstlane_b32 s7, v11
	s_delay_alu instid0(VALU_DEP_1) | instskip(NEXT) | instid1(SALU_CYCLE_1)
	s_and_b64 s[6:7], s[4:5], s[6:7]
	s_mul_i32 s9, s7, 24
	s_mul_hi_u32 s10, s6, 24
	s_mul_i32 s11, s6, 24
	s_add_i32 s10, s10, s9
	s_waitcnt vmcnt(0)
	v_add_co_u32 v8, vcc_lo, v4, s11
	v_add_co_ci_u32_e32 v9, vcc_lo, s10, v5, vcc_lo
	s_and_saveexec_b32 s9, s0
	s_cbranch_execz .LBB0_95
; %bb.94:
	v_dual_mov_b32 v10, s8 :: v_dual_mov_b32 v11, v2
	v_dual_mov_b32 v12, 2 :: v_dual_mov_b32 v13, 1
	global_store_b128 v[8:9], v[10:13], off offset:8
.LBB0_95:
	s_or_b32 exec_lo, exec_lo, s9
	s_lshl_b64 s[6:7], s[6:7], 12
	s_mov_b32 s8, 0
	v_add_co_u32 v6, vcc_lo, v6, s6
	v_add_co_ci_u32_e32 v7, vcc_lo, s7, v7, vcc_lo
	s_mov_b32 s11, s8
	s_mov_b32 s9, s8
	;; [unrolled: 1-line block ×3, first 2 shown]
	v_and_or_b32 v0, 0xffffff1f, v0, 32
	v_dual_mov_b32 v3, v2 :: v_dual_lshlrev_b32 v14, 6, v33
	v_readfirstlane_b32 s6, v6
	v_readfirstlane_b32 s7, v7
	v_dual_mov_b32 v13, s11 :: v_dual_mov_b32 v12, s10
	v_dual_mov_b32 v11, s9 :: v_dual_mov_b32 v10, s8
	s_clause 0x3
	global_store_b128 v14, v[0:3], s[6:7]
	global_store_b128 v14, v[10:13], s[6:7] offset:16
	global_store_b128 v14, v[10:13], s[6:7] offset:32
	;; [unrolled: 1-line block ×3, first 2 shown]
	s_and_saveexec_b32 s6, s0
	s_cbranch_execz .LBB0_102
; %bb.96:
	v_mov_b32_e32 v6, 0
	s_mov_b32 s7, exec_lo
	s_clause 0x1
	global_load_b64 v[12:13], v6, s[2:3] offset:32 glc
	global_load_b64 v[0:1], v6, s[2:3] offset:40
	v_dual_mov_b32 v11, s5 :: v_dual_mov_b32 v10, s4
	s_waitcnt vmcnt(0)
	v_and_b32_e32 v1, s5, v1
	v_and_b32_e32 v0, s4, v0
	s_delay_alu instid0(VALU_DEP_2) | instskip(NEXT) | instid1(VALU_DEP_2)
	v_mul_lo_u32 v1, v1, 24
	v_mul_hi_u32 v2, v0, 24
	v_mul_lo_u32 v0, v0, 24
	s_delay_alu instid0(VALU_DEP_2) | instskip(NEXT) | instid1(VALU_DEP_2)
	v_add_nc_u32_e32 v1, v2, v1
	v_add_co_u32 v4, vcc_lo, v4, v0
	s_delay_alu instid0(VALU_DEP_2)
	v_add_co_ci_u32_e32 v5, vcc_lo, v5, v1, vcc_lo
	global_store_b64 v[4:5], v[12:13], off
	s_waitcnt_vscnt null, 0x0
	global_atomic_cmpswap_b64 v[2:3], v6, v[10:13], s[2:3] offset:32 glc
	s_waitcnt vmcnt(0)
	v_cmpx_ne_u64_e64 v[2:3], v[12:13]
	s_cbranch_execz .LBB0_98
.LBB0_97:                               ; =>This Inner Loop Header: Depth=1
	v_dual_mov_b32 v0, s4 :: v_dual_mov_b32 v1, s5
	s_sleep 1
	global_store_b64 v[4:5], v[2:3], off
	s_waitcnt_vscnt null, 0x0
	global_atomic_cmpswap_b64 v[0:1], v6, v[0:3], s[2:3] offset:32 glc
	s_waitcnt vmcnt(0)
	v_cmp_eq_u64_e32 vcc_lo, v[0:1], v[2:3]
	v_dual_mov_b32 v3, v1 :: v_dual_mov_b32 v2, v0
	s_or_b32 s8, vcc_lo, s8
	s_delay_alu instid0(SALU_CYCLE_1)
	s_and_not1_b32 exec_lo, exec_lo, s8
	s_cbranch_execnz .LBB0_97
.LBB0_98:
	s_or_b32 exec_lo, exec_lo, s7
	v_mov_b32_e32 v3, 0
	s_mov_b32 s8, exec_lo
	s_mov_b32 s7, exec_lo
	v_mbcnt_lo_u32_b32 v2, s8, 0
	global_load_b64 v[0:1], v3, s[2:3] offset:16
	v_cmpx_eq_u32_e32 0, v2
	s_cbranch_execz .LBB0_100
; %bb.99:
	s_bcnt1_i32_b32 s8, s8
	s_delay_alu instid0(SALU_CYCLE_1)
	v_mov_b32_e32 v2, s8
	s_waitcnt vmcnt(0)
	global_atomic_add_u64 v[0:1], v[2:3], off offset:8
.LBB0_100:
	s_or_b32 exec_lo, exec_lo, s7
	s_waitcnt vmcnt(0)
	global_load_b64 v[2:3], v[0:1], off offset:16
	s_waitcnt vmcnt(0)
	v_cmp_eq_u64_e32 vcc_lo, 0, v[2:3]
	s_cbranch_vccnz .LBB0_102
; %bb.101:
	global_load_b32 v0, v[0:1], off offset:24
	s_waitcnt vmcnt(0)
	v_dual_mov_b32 v1, 0 :: v_dual_and_b32 v4, 0xffffff, v0
	s_waitcnt_vscnt null, 0x0
	global_store_b64 v[2:3], v[0:1], off
	v_readfirstlane_b32 m0, v4
	s_sendmsg sendmsg(MSG_INTERRUPT)
.LBB0_102:
	s_or_b32 exec_lo, exec_lo, s6
	s_branch .LBB0_106
	.p2align	6
.LBB0_103:                              ;   in Loop: Header=BB0_106 Depth=1
	s_or_b32 exec_lo, exec_lo, s6
	s_delay_alu instid0(VALU_DEP_1) | instskip(NEXT) | instid1(VALU_DEP_1)
	v_readfirstlane_b32 s6, v0
	s_cmp_eq_u32 s6, 0
	s_cbranch_scc1 .LBB0_105
; %bb.104:                              ;   in Loop: Header=BB0_106 Depth=1
	s_sleep 1
	s_cbranch_execnz .LBB0_106
	s_branch .LBB0_109
	.p2align	6
.LBB0_105:
	s_branch .LBB0_109
.LBB0_106:                              ; =>This Inner Loop Header: Depth=1
	v_mov_b32_e32 v0, 1
	s_and_saveexec_b32 s6, s0
	s_cbranch_execz .LBB0_103
; %bb.107:                              ;   in Loop: Header=BB0_106 Depth=1
	global_load_b32 v0, v[8:9], off offset:20 glc
	s_waitcnt vmcnt(0)
	buffer_gl1_inv
	buffer_gl0_inv
	v_and_b32_e32 v0, 1, v0
	s_branch .LBB0_103
.LBB0_108:
	s_or_b32 exec_lo, exec_lo, s1
	s_waitcnt vmcnt(0) lgkmcnt(0)
	s_setpc_b64 s[30:31]
.LBB0_109:
	s_and_saveexec_b32 s6, s0
	s_cbranch_execz .LBB0_113
; %bb.110:
	v_mov_b32_e32 v6, 0
	s_clause 0x2
	global_load_b64 v[2:3], v6, s[2:3] offset:40
	global_load_b64 v[7:8], v6, s[2:3] offset:24 glc
	global_load_b64 v[4:5], v6, s[2:3]
	s_waitcnt vmcnt(2)
	v_add_co_u32 v9, vcc_lo, v2, 1
	v_add_co_ci_u32_e32 v10, vcc_lo, 0, v3, vcc_lo
	s_delay_alu instid0(VALU_DEP_2) | instskip(NEXT) | instid1(VALU_DEP_2)
	v_add_co_u32 v0, vcc_lo, v9, s4
	v_add_co_ci_u32_e32 v1, vcc_lo, s5, v10, vcc_lo
	s_delay_alu instid0(VALU_DEP_1) | instskip(SKIP_1) | instid1(VALU_DEP_1)
	v_cmp_eq_u64_e32 vcc_lo, 0, v[0:1]
	v_dual_cndmask_b32 v1, v1, v10 :: v_dual_cndmask_b32 v0, v0, v9
	v_and_b32_e32 v3, v1, v3
	s_delay_alu instid0(VALU_DEP_2) | instskip(NEXT) | instid1(VALU_DEP_2)
	v_and_b32_e32 v2, v0, v2
	v_mul_lo_u32 v3, v3, 24
	s_delay_alu instid0(VALU_DEP_2) | instskip(SKIP_1) | instid1(VALU_DEP_2)
	v_mul_hi_u32 v9, v2, 24
	v_mul_lo_u32 v2, v2, 24
	v_add_nc_u32_e32 v3, v9, v3
	s_waitcnt vmcnt(0)
	s_delay_alu instid0(VALU_DEP_2) | instskip(SKIP_1) | instid1(VALU_DEP_3)
	v_add_co_u32 v4, vcc_lo, v4, v2
	v_mov_b32_e32 v2, v7
	v_add_co_ci_u32_e32 v5, vcc_lo, v5, v3, vcc_lo
	v_mov_b32_e32 v3, v8
	global_store_b64 v[4:5], v[7:8], off
	s_waitcnt_vscnt null, 0x0
	global_atomic_cmpswap_b64 v[2:3], v6, v[0:3], s[2:3] offset:24 glc
	s_waitcnt vmcnt(0)
	v_cmp_ne_u64_e32 vcc_lo, v[2:3], v[7:8]
	s_and_b32 exec_lo, exec_lo, vcc_lo
	s_cbranch_execz .LBB0_113
; %bb.111:
	s_mov_b32 s0, 0
.LBB0_112:                              ; =>This Inner Loop Header: Depth=1
	s_sleep 1
	global_store_b64 v[4:5], v[2:3], off
	s_waitcnt_vscnt null, 0x0
	global_atomic_cmpswap_b64 v[7:8], v6, v[0:3], s[2:3] offset:24 glc
	s_waitcnt vmcnt(0)
	v_cmp_eq_u64_e32 vcc_lo, v[7:8], v[2:3]
	v_dual_mov_b32 v2, v7 :: v_dual_mov_b32 v3, v8
	s_or_b32 s0, vcc_lo, s0
	s_delay_alu instid0(SALU_CYCLE_1)
	s_and_not1_b32 exec_lo, exec_lo, s0
	s_cbranch_execnz .LBB0_112
.LBB0_113:
	s_or_b32 exec_lo, exec_lo, s6
	s_delay_alu instid0(SALU_CYCLE_1)
	s_or_b32 exec_lo, exec_lo, s1
	s_waitcnt lgkmcnt(0)
	s_setpc_b64 s[30:31]
.Lfunc_end0:
	.size	__ockl_fprintf_append_string_n, .Lfunc_end0-__ockl_fprintf_append_string_n
                                        ; -- End function
	.section	.AMDGPU.csdata,"",@progbits
; Function info:
; codeLenInByte = 4740
; NumSgprs: 34
; NumVgprs: 36
; ScratchSize: 0
; MemoryBound: 0
	.text
	.p2align	2                               ; -- Begin function __assert_fail
	.type	__assert_fail,@function
__assert_fail:                          ; @__assert_fail
; %bb.0:
	s_waitcnt vmcnt(0) expcnt(0) lgkmcnt(0)
	s_mov_b32 s20, s33
	s_mov_b32 s33, s32
	s_or_saveexec_b32 s0, -1
	scratch_store_b32 off, v40, s33 offset:48 ; 4-byte Folded Spill
	s_mov_b32 exec_lo, s0
	v_writelane_b32 v40, s30, 0
	s_add_i32 s32, s32, 64
	v_writelane_b32 v40, s31, 1
	s_getpc_b64 s[0:1]
	s_add_u32 s0, s0, __const.__assert_fail.fmt@rel32@lo+4
	s_addc_u32 s1, s1, __const.__assert_fail.fmt@rel32@hi+12
	s_getpc_b64 s[2:3]
	s_add_u32 s2, s2, __const.__assert_fail.fmt@rel32@lo+20
	s_addc_u32 s3, s3, __const.__assert_fail.fmt@rel32@hi+28
	v_mbcnt_lo_u32_b32 v35, -1, 0
	s_clause 0x1
	s_load_b128 s[4:7], s[0:1], 0x0
	s_load_b128 s[12:15], s[2:3], 0x0
	s_load_b64 s[2:3], s[8:9], 0x50
	v_dual_mov_b32 v5, v1 :: v_dual_mov_b32 v4, v0
	v_mov_b32_e32 v14, 0x73256020
	v_readfirstlane_b32 s0, v35
	v_mov_b32_e32 v0, 0
	v_dual_mov_b32 v2, 0 :: v_dual_mov_b32 v3, 0xa2e
	v_mov_b32_e32 v15, 0x61662027
	v_dual_mov_b32 v16, 0x64656c69 :: v_dual_mov_b32 v1, 0
	v_cmp_eq_u32_e64 s0, s0, v35
	s_waitcnt lgkmcnt(0)
	v_dual_mov_b32 v9, s7 :: v_dual_mov_b32 v8, s6
	v_dual_mov_b32 v7, s5 :: v_dual_mov_b32 v6, s4
	;; [unrolled: 1-line block ×4, first 2 shown]
	s_clause 0x4
	scratch_store_b128 off, v[6:9], s33
	scratch_store_b128 off, v[10:13], s33 offset:16
	scratch_store_b8 off, v2, s33 offset:46
	scratch_store_b16 off, v3, s33 offset:44
	scratch_store_b96 off, v[14:16], s33 offset:32
	s_and_saveexec_b32 s1, s0
	s_cbranch_execz .LBB1_6
; %bb.1:
	global_load_b64 v[8:9], v2, s[2:3] offset:24 glc
	s_waitcnt vmcnt(0)
	buffer_gl1_inv
	buffer_gl0_inv
	s_clause 0x1
	global_load_b64 v[0:1], v2, s[2:3] offset:40
	global_load_b64 v[6:7], v2, s[2:3]
	s_mov_b32 s4, exec_lo
	s_waitcnt vmcnt(1)
	v_and_b32_e32 v1, v1, v9
	v_and_b32_e32 v0, v0, v8
	s_delay_alu instid0(VALU_DEP_2) | instskip(NEXT) | instid1(VALU_DEP_2)
	v_mul_lo_u32 v1, v1, 24
	v_mul_hi_u32 v3, v0, 24
	v_mul_lo_u32 v0, v0, 24
	s_delay_alu instid0(VALU_DEP_2) | instskip(SKIP_1) | instid1(VALU_DEP_2)
	v_add_nc_u32_e32 v1, v3, v1
	s_waitcnt vmcnt(0)
	v_add_co_u32 v0, vcc_lo, v6, v0
	s_delay_alu instid0(VALU_DEP_2)
	v_add_co_ci_u32_e32 v1, vcc_lo, v7, v1, vcc_lo
	global_load_b64 v[6:7], v[0:1], off glc
	s_waitcnt vmcnt(0)
	global_atomic_cmpswap_b64 v[0:1], v2, v[6:9], s[2:3] offset:24 glc
	s_waitcnt vmcnt(0)
	buffer_gl1_inv
	buffer_gl0_inv
	v_cmpx_ne_u64_e64 v[0:1], v[8:9]
	s_cbranch_execz .LBB1_5
; %bb.2:
	s_mov_b32 s5, 0
	.p2align	6
.LBB1_3:                                ; =>This Inner Loop Header: Depth=1
	s_sleep 1
	s_clause 0x1
	global_load_b64 v[6:7], v2, s[2:3] offset:40
	global_load_b64 v[10:11], v2, s[2:3]
	v_dual_mov_b32 v9, v1 :: v_dual_mov_b32 v8, v0
	s_waitcnt vmcnt(1)
	s_delay_alu instid0(VALU_DEP_1) | instskip(SKIP_1) | instid1(VALU_DEP_1)
	v_and_b32_e32 v3, v6, v8
	s_waitcnt vmcnt(0)
	v_mad_u64_u32 v[0:1], null, v3, 24, v[10:11]
	v_and_b32_e32 v3, v7, v9
	s_delay_alu instid0(VALU_DEP_1) | instskip(NEXT) | instid1(VALU_DEP_1)
	v_mad_u64_u32 v[6:7], null, v3, 24, v[1:2]
	v_mov_b32_e32 v1, v6
	global_load_b64 v[6:7], v[0:1], off glc
	s_waitcnt vmcnt(0)
	global_atomic_cmpswap_b64 v[0:1], v2, v[6:9], s[2:3] offset:24 glc
	s_waitcnt vmcnt(0)
	buffer_gl1_inv
	buffer_gl0_inv
	v_cmp_eq_u64_e32 vcc_lo, v[0:1], v[8:9]
	s_or_b32 s5, vcc_lo, s5
	s_delay_alu instid0(SALU_CYCLE_1)
	s_and_not1_b32 exec_lo, exec_lo, s5
	s_cbranch_execnz .LBB1_3
; %bb.4:
	s_or_b32 exec_lo, exec_lo, s5
.LBB1_5:
	s_delay_alu instid0(SALU_CYCLE_1)
	s_or_b32 exec_lo, exec_lo, s4
.LBB1_6:
	s_delay_alu instid0(SALU_CYCLE_1)
	s_or_b32 exec_lo, exec_lo, s1
	s_clause 0x1
	global_load_b64 v[10:11], v2, s[2:3] offset:40
	global_load_b128 v[6:9], v2, s[2:3]
	v_readfirstlane_b32 s4, v0
	v_readfirstlane_b32 s5, v1
	s_mov_b32 s1, exec_lo
	s_waitcnt vmcnt(1)
	v_readfirstlane_b32 s6, v10
	v_readfirstlane_b32 s7, v11
	s_delay_alu instid0(VALU_DEP_1) | instskip(NEXT) | instid1(SALU_CYCLE_1)
	s_and_b64 s[6:7], s[4:5], s[6:7]
	s_mul_i32 s10, s7, 24
	s_mul_hi_u32 s11, s6, 24
	s_mul_i32 s12, s6, 24
	s_add_i32 s11, s11, s10
	s_waitcnt vmcnt(0)
	v_add_co_u32 v10, vcc_lo, v6, s12
	v_add_co_ci_u32_e32 v11, vcc_lo, s11, v7, vcc_lo
	s_and_saveexec_b32 s10, s0
	s_cbranch_execz .LBB1_8
; %bb.7:
	v_dual_mov_b32 v0, s1 :: v_dual_mov_b32 v1, 0
	v_dual_mov_b32 v2, 2 :: v_dual_mov_b32 v3, 1
	global_store_b128 v[10:11], v[0:3], off offset:8
.LBB1_8:
	s_or_b32 exec_lo, exec_lo, s10
	s_lshl_b64 s[6:7], s[6:7], 12
	v_dual_mov_b32 v1, 0 :: v_dual_lshlrev_b32 v34, 6, v35
	v_add_co_u32 v8, vcc_lo, v8, s6
	v_add_co_ci_u32_e32 v9, vcc_lo, s7, v9, vcc_lo
	s_mov_b32 s12, 0
	s_delay_alu instid0(VALU_DEP_2)
	v_add_co_u32 v12, vcc_lo, v8, v34
	s_mov_b32 s15, s12
	s_mov_b32 s13, s12
	;; [unrolled: 1-line block ×3, first 2 shown]
	v_dual_mov_b32 v0, 33 :: v_dual_mov_b32 v3, v1
	v_dual_mov_b32 v2, 1 :: v_dual_mov_b32 v17, s15
	v_readfirstlane_b32 s6, v8
	v_readfirstlane_b32 s7, v9
	v_add_co_ci_u32_e32 v13, vcc_lo, 0, v9, vcc_lo
	v_dual_mov_b32 v16, s14 :: v_dual_mov_b32 v15, s13
	v_mov_b32_e32 v14, s12
	s_clause 0x3
	global_store_b128 v34, v[0:3], s[6:7]
	global_store_b128 v34, v[14:17], s[6:7] offset:16
	global_store_b128 v34, v[14:17], s[6:7] offset:32
	;; [unrolled: 1-line block ×3, first 2 shown]
	s_and_saveexec_b32 s1, s0
	s_cbranch_execz .LBB1_16
; %bb.9:
	s_clause 0x1
	global_load_b64 v[16:17], v1, s[2:3] offset:32 glc
	global_load_b64 v[2:3], v1, s[2:3] offset:40
	v_mov_b32_e32 v14, s4
	s_mov_b32 s6, exec_lo
	s_waitcnt vmcnt(0)
	v_dual_mov_b32 v15, s5 :: v_dual_and_b32 v0, s5, v3
	v_and_b32_e32 v2, s4, v2
	s_delay_alu instid0(VALU_DEP_2) | instskip(NEXT) | instid1(VALU_DEP_2)
	v_mul_lo_u32 v0, v0, 24
	v_mul_hi_u32 v3, v2, 24
	v_mul_lo_u32 v2, v2, 24
	s_delay_alu instid0(VALU_DEP_2) | instskip(NEXT) | instid1(VALU_DEP_2)
	v_add_nc_u32_e32 v0, v3, v0
	v_add_co_u32 v2, vcc_lo, v6, v2
	s_delay_alu instid0(VALU_DEP_2)
	v_add_co_ci_u32_e32 v3, vcc_lo, v7, v0, vcc_lo
	global_store_b64 v[2:3], v[16:17], off
	s_waitcnt_vscnt null, 0x0
	global_atomic_cmpswap_b64 v[8:9], v1, v[14:17], s[2:3] offset:32 glc
	s_waitcnt vmcnt(0)
	v_cmpx_ne_u64_e64 v[8:9], v[16:17]
	s_cbranch_execz .LBB1_12
; %bb.10:
	s_mov_b32 s7, 0
.LBB1_11:                               ; =>This Inner Loop Header: Depth=1
	v_dual_mov_b32 v6, s4 :: v_dual_mov_b32 v7, s5
	s_sleep 1
	global_store_b64 v[2:3], v[8:9], off
	s_waitcnt_vscnt null, 0x0
	global_atomic_cmpswap_b64 v[6:7], v1, v[6:9], s[2:3] offset:32 glc
	s_waitcnt vmcnt(0)
	v_cmp_eq_u64_e32 vcc_lo, v[6:7], v[8:9]
	v_dual_mov_b32 v9, v7 :: v_dual_mov_b32 v8, v6
	s_or_b32 s7, vcc_lo, s7
	s_delay_alu instid0(SALU_CYCLE_1)
	s_and_not1_b32 exec_lo, exec_lo, s7
	s_cbranch_execnz .LBB1_11
.LBB1_12:
	s_or_b32 exec_lo, exec_lo, s6
	v_mov_b32_e32 v3, 0
	s_mov_b32 s7, exec_lo
	s_mov_b32 s6, exec_lo
	v_mbcnt_lo_u32_b32 v2, s7, 0
	global_load_b64 v[0:1], v3, s[2:3] offset:16
	v_cmpx_eq_u32_e32 0, v2
	s_cbranch_execz .LBB1_14
; %bb.13:
	s_bcnt1_i32_b32 s7, s7
	s_delay_alu instid0(SALU_CYCLE_1)
	v_mov_b32_e32 v2, s7
	s_waitcnt vmcnt(0)
	global_atomic_add_u64 v[0:1], v[2:3], off offset:8
.LBB1_14:
	s_or_b32 exec_lo, exec_lo, s6
	s_waitcnt vmcnt(0)
	global_load_b64 v[2:3], v[0:1], off offset:16
	s_waitcnt vmcnt(0)
	v_cmp_eq_u64_e32 vcc_lo, 0, v[2:3]
	s_cbranch_vccnz .LBB1_16
; %bb.15:
	global_load_b32 v0, v[0:1], off offset:24
	s_waitcnt vmcnt(0)
	v_dual_mov_b32 v1, 0 :: v_dual_and_b32 v6, 0xffffff, v0
	s_waitcnt_vscnt null, 0x0
	global_store_b64 v[2:3], v[0:1], off
	v_readfirstlane_b32 m0, v6
	s_sendmsg sendmsg(MSG_INTERRUPT)
.LBB1_16:
	s_or_b32 exec_lo, exec_lo, s1
	s_branch .LBB1_20
	.p2align	6
.LBB1_17:                               ;   in Loop: Header=BB1_20 Depth=1
	s_or_b32 exec_lo, exec_lo, s1
	s_delay_alu instid0(VALU_DEP_1) | instskip(NEXT) | instid1(VALU_DEP_1)
	v_readfirstlane_b32 s1, v0
	s_cmp_eq_u32 s1, 0
	s_cbranch_scc1 .LBB1_19
; %bb.18:                               ;   in Loop: Header=BB1_20 Depth=1
	s_sleep 1
	s_cbranch_execnz .LBB1_20
	s_branch .LBB1_22
	.p2align	6
.LBB1_19:
	s_branch .LBB1_22
.LBB1_20:                               ; =>This Inner Loop Header: Depth=1
	v_mov_b32_e32 v0, 1
	s_and_saveexec_b32 s1, s0
	s_cbranch_execz .LBB1_17
; %bb.21:                               ;   in Loop: Header=BB1_20 Depth=1
	global_load_b32 v0, v[10:11], off offset:20 glc
	s_waitcnt vmcnt(0)
	buffer_gl1_inv
	buffer_gl0_inv
	v_and_b32_e32 v0, 1, v0
	s_branch .LBB1_17
.LBB1_22:
	global_load_b64 v[6:7], v[12:13], off
	s_and_saveexec_b32 s1, s0
	s_cbranch_execz .LBB1_26
; %bb.23:
	v_mov_b32_e32 v10, 0
	s_clause 0x2
	global_load_b64 v[2:3], v10, s[2:3] offset:40
	global_load_b64 v[11:12], v10, s[2:3] offset:24 glc
	global_load_b64 v[8:9], v10, s[2:3]
	s_waitcnt vmcnt(2)
	v_add_co_u32 v13, vcc_lo, v2, 1
	v_add_co_ci_u32_e32 v14, vcc_lo, 0, v3, vcc_lo
	s_delay_alu instid0(VALU_DEP_2) | instskip(NEXT) | instid1(VALU_DEP_2)
	v_add_co_u32 v0, vcc_lo, v13, s4
	v_add_co_ci_u32_e32 v1, vcc_lo, s5, v14, vcc_lo
	s_delay_alu instid0(VALU_DEP_1) | instskip(SKIP_1) | instid1(VALU_DEP_1)
	v_cmp_eq_u64_e32 vcc_lo, 0, v[0:1]
	v_dual_cndmask_b32 v1, v1, v14 :: v_dual_cndmask_b32 v0, v0, v13
	v_and_b32_e32 v3, v1, v3
	s_delay_alu instid0(VALU_DEP_2) | instskip(NEXT) | instid1(VALU_DEP_2)
	v_and_b32_e32 v2, v0, v2
	v_mul_lo_u32 v3, v3, 24
	s_delay_alu instid0(VALU_DEP_2) | instskip(SKIP_1) | instid1(VALU_DEP_2)
	v_mul_hi_u32 v13, v2, 24
	v_mul_lo_u32 v2, v2, 24
	v_add_nc_u32_e32 v3, v13, v3
	s_waitcnt vmcnt(0)
	s_delay_alu instid0(VALU_DEP_2) | instskip(SKIP_1) | instid1(VALU_DEP_3)
	v_add_co_u32 v8, vcc_lo, v8, v2
	v_mov_b32_e32 v2, v11
	v_add_co_ci_u32_e32 v9, vcc_lo, v9, v3, vcc_lo
	v_mov_b32_e32 v3, v12
	global_store_b64 v[8:9], v[11:12], off
	s_waitcnt_vscnt null, 0x0
	global_atomic_cmpswap_b64 v[2:3], v10, v[0:3], s[2:3] offset:24 glc
	s_waitcnt vmcnt(0)
	v_cmp_ne_u64_e32 vcc_lo, v[2:3], v[11:12]
	s_and_b32 exec_lo, exec_lo, vcc_lo
	s_cbranch_execz .LBB1_26
; %bb.24:
	s_mov_b32 s0, 0
.LBB1_25:                               ; =>This Inner Loop Header: Depth=1
	s_sleep 1
	global_store_b64 v[8:9], v[2:3], off
	s_waitcnt_vscnt null, 0x0
	global_atomic_cmpswap_b64 v[11:12], v10, v[0:3], s[2:3] offset:24 glc
	s_waitcnt vmcnt(0)
	v_cmp_eq_u64_e32 vcc_lo, v[11:12], v[2:3]
	v_dual_mov_b32 v2, v11 :: v_dual_mov_b32 v3, v12
	s_or_b32 s0, vcc_lo, s0
	s_delay_alu instid0(SALU_CYCLE_1)
	s_and_not1_b32 exec_lo, exec_lo, s0
	s_cbranch_execnz .LBB1_25
.LBB1_26:
	s_or_b32 exec_lo, exec_lo, s1
	v_mov_b32_e32 v1, s33
	s_mov_b32 s0, 0
.LBB1_27:                               ; =>This Inner Loop Header: Depth=1
	scratch_load_u8 v2, v1, off
	v_add_nc_u32_e32 v0, 1, v1
	s_delay_alu instid0(VALU_DEP_1) | instskip(SKIP_3) | instid1(SALU_CYCLE_1)
	v_mov_b32_e32 v1, v0
	s_waitcnt vmcnt(0)
	v_cmp_eq_u16_e32 vcc_lo, 0, v2
	s_or_b32 s0, vcc_lo, s0
	s_and_not1_b32 exec_lo, exec_lo, s0
	s_cbranch_execnz .LBB1_27
; %bb.28:
	s_or_b32 exec_lo, exec_lo, s0
	v_cmp_ne_u32_e64 s0, -1, s33
	s_delay_alu instid0(VALU_DEP_1)
	s_and_b32 vcc_lo, exec_lo, s0
	s_cbranch_vccz .LBB1_113
; %bb.29:
	v_subrev_nc_u32_e32 v28, s33, v0
	v_dual_mov_b32 v9, 0 :: v_dual_and_b32 v36, 2, v6
	v_dual_mov_b32 v1, v7 :: v_dual_and_b32 v0, -3, v6
	s_delay_alu instid0(VALU_DEP_3)
	v_ashrrev_i32_e32 v29, 31, v28
	v_dual_mov_b32 v37, s33 :: v_dual_mov_b32 v10, 2
	v_mov_b32_e32 v11, 1
	s_mov_b32 s11, 0
	s_mov_b32 s10, 0
	s_branch .LBB1_31
.LBB1_30:                               ;   in Loop: Header=BB1_31 Depth=1
	s_or_b32 exec_lo, exec_lo, s1
	v_sub_co_u32 v28, vcc_lo, v28, v30
	v_sub_co_ci_u32_e32 v29, vcc_lo, v29, v31, vcc_lo
	v_add_nc_u32_e32 v37, v37, v30
	s_delay_alu instid0(VALU_DEP_2) | instskip(SKIP_1) | instid1(SALU_CYCLE_1)
	v_cmp_eq_u64_e32 vcc_lo, 0, v[28:29]
	s_or_b32 s10, vcc_lo, s10
	s_and_not1_b32 exec_lo, exec_lo, s10
	s_cbranch_execz .LBB1_114
.LBB1_31:                               ; =>This Loop Header: Depth=1
                                        ;     Child Loop BB1_34 Depth 2
                                        ;     Child Loop BB1_42 Depth 2
	;; [unrolled: 1-line block ×11, first 2 shown]
	v_cmp_gt_u64_e32 vcc_lo, 56, v[28:29]
	s_mov_b32 s4, exec_lo
                                        ; implicit-def: $vgpr2_vgpr3
                                        ; implicit-def: $sgpr1
	v_dual_cndmask_b32 v31, 0, v29 :: v_dual_cndmask_b32 v30, 56, v28
	v_cmpx_gt_u64_e32 8, v[28:29]
	s_xor_b32 s4, exec_lo, s4
	s_cbranch_execz .LBB1_37
; %bb.32:                               ;   in Loop: Header=BB1_31 Depth=1
	s_waitcnt vmcnt(0)
	v_mov_b32_e32 v2, 0
	v_mov_b32_e32 v3, 0
	s_mov_b64 s[0:1], 0
	s_mov_b32 s5, exec_lo
	v_cmpx_ne_u64_e32 0, v[28:29]
	s_cbranch_execz .LBB1_36
; %bb.33:                               ;   in Loop: Header=BB1_31 Depth=1
	v_lshlrev_b64 v[12:13], 3, v[30:31]
	v_mov_b32_e32 v2, 0
	v_dual_mov_b32 v3, 0 :: v_dual_mov_b32 v8, v37
	s_mov_b32 s6, 0
.LBB1_34:                               ;   Parent Loop BB1_31 Depth=1
                                        ; =>  This Inner Loop Header: Depth=2
	scratch_load_u8 v13, v8, off
	v_mov_b32_e32 v14, s11
	v_add_nc_u32_e32 v8, 1, v8
	s_waitcnt vmcnt(0)
	v_and_b32_e32 v13, 0xffff, v13
	s_delay_alu instid0(VALU_DEP_1) | instskip(SKIP_3) | instid1(VALU_DEP_2)
	v_lshlrev_b64 v[13:14], s0, v[13:14]
	s_add_u32 s0, s0, 8
	s_addc_u32 s1, s1, 0
	v_cmp_eq_u32_e32 vcc_lo, s0, v12
	v_or_b32_e32 v3, v14, v3
	s_delay_alu instid0(VALU_DEP_3) | instskip(SKIP_1) | instid1(SALU_CYCLE_1)
	v_or_b32_e32 v2, v13, v2
	s_or_b32 s6, vcc_lo, s6
	s_and_not1_b32 exec_lo, exec_lo, s6
	s_cbranch_execnz .LBB1_34
; %bb.35:                               ;   in Loop: Header=BB1_31 Depth=1
	s_or_b32 exec_lo, exec_lo, s6
.LBB1_36:                               ;   in Loop: Header=BB1_31 Depth=1
	s_delay_alu instid0(SALU_CYCLE_1)
	s_or_b32 exec_lo, exec_lo, s5
	s_mov_b32 s1, 0
.LBB1_37:                               ;   in Loop: Header=BB1_31 Depth=1
	s_or_saveexec_b32 s0, s4
	v_mov_b32_e32 v14, s1
	v_mov_b32_e32 v8, v37
	s_xor_b32 exec_lo, exec_lo, s0
	s_cbranch_execz .LBB1_39
; %bb.38:                               ;   in Loop: Header=BB1_31 Depth=1
	scratch_load_b64 v[2:3], v37, off
	v_add_nc_u32_e32 v14, -8, v30
	s_waitcnt vmcnt(0)
	v_and_b32_e32 v8, 0xff, v3
	v_and_b32_e32 v12, 0xff00, v3
	;; [unrolled: 1-line block ×4, first 2 shown]
	v_or3_b32 v2, v2, 0, 0
	s_delay_alu instid0(VALU_DEP_4) | instskip(NEXT) | instid1(VALU_DEP_1)
	v_or_b32_e32 v8, v8, v12
	v_or3_b32 v3, v8, v13, v3
	v_add_nc_u32_e32 v8, 8, v37
.LBB1_39:                               ;   in Loop: Header=BB1_31 Depth=1
	s_or_b32 exec_lo, exec_lo, s0
                                        ; implicit-def: $vgpr12_vgpr13
                                        ; implicit-def: $sgpr1
	s_delay_alu instid0(SALU_CYCLE_1)
	s_mov_b32 s0, exec_lo
	v_cmpx_gt_u32_e32 8, v14
	s_xor_b32 s4, exec_lo, s0
	s_cbranch_execz .LBB1_45
; %bb.40:                               ;   in Loop: Header=BB1_31 Depth=1
	v_mov_b32_e32 v12, 0
	v_mov_b32_e32 v13, 0
	s_mov_b32 s5, exec_lo
	v_cmpx_ne_u32_e32 0, v14
	s_cbranch_execz .LBB1_44
; %bb.41:                               ;   in Loop: Header=BB1_31 Depth=1
	v_mov_b32_e32 v12, 0
	v_mov_b32_e32 v13, 0
	s_mov_b64 s[0:1], 0
	s_mov_b32 s6, 0
	s_mov_b32 s7, 0
	.p2align	6
.LBB1_42:                               ;   Parent Loop BB1_31 Depth=1
                                        ; =>  This Inner Loop Header: Depth=2
	s_delay_alu instid0(SALU_CYCLE_1) | instskip(SKIP_1) | instid1(SALU_CYCLE_1)
	v_dual_mov_b32 v16, s11 :: v_dual_add_nc_u32 v15, s7, v8
	s_add_i32 s7, s7, 1
	v_cmp_eq_u32_e32 vcc_lo, s7, v14
	scratch_load_u8 v15, v15, off
	s_waitcnt vmcnt(0)
	v_and_b32_e32 v15, 0xffff, v15
	s_delay_alu instid0(VALU_DEP_1) | instskip(SKIP_3) | instid1(VALU_DEP_1)
	v_lshlrev_b64 v[15:16], s0, v[15:16]
	s_add_u32 s0, s0, 8
	s_addc_u32 s1, s1, 0
	s_or_b32 s6, vcc_lo, s6
	v_or_b32_e32 v13, v16, v13
	s_delay_alu instid0(VALU_DEP_2)
	v_or_b32_e32 v12, v15, v12
	s_and_not1_b32 exec_lo, exec_lo, s6
	s_cbranch_execnz .LBB1_42
; %bb.43:                               ;   in Loop: Header=BB1_31 Depth=1
	s_or_b32 exec_lo, exec_lo, s6
.LBB1_44:                               ;   in Loop: Header=BB1_31 Depth=1
	s_delay_alu instid0(SALU_CYCLE_1)
	s_or_b32 exec_lo, exec_lo, s5
	s_mov_b32 s1, 0
                                        ; implicit-def: $vgpr14
.LBB1_45:                               ;   in Loop: Header=BB1_31 Depth=1
	s_or_saveexec_b32 s0, s4
	v_mov_b32_e32 v16, s1
	s_xor_b32 exec_lo, exec_lo, s0
	s_cbranch_execz .LBB1_47
; %bb.46:                               ;   in Loop: Header=BB1_31 Depth=1
	scratch_load_b64 v[12:13], v8, off
	v_add_nc_u32_e32 v8, 8, v8
	s_waitcnt vmcnt(0)
	v_and_b32_e32 v15, 0xff, v13
	v_and_b32_e32 v16, 0xff00, v13
	;; [unrolled: 1-line block ×4, first 2 shown]
	v_or3_b32 v12, v12, 0, 0
	s_delay_alu instid0(VALU_DEP_4) | instskip(SKIP_1) | instid1(VALU_DEP_2)
	v_or_b32_e32 v15, v15, v16
	v_add_nc_u32_e32 v16, -8, v14
	v_or3_b32 v13, v15, v17, v13
.LBB1_47:                               ;   in Loop: Header=BB1_31 Depth=1
	s_or_b32 exec_lo, exec_lo, s0
                                        ; implicit-def: $sgpr1
	s_delay_alu instid0(SALU_CYCLE_1) | instskip(NEXT) | instid1(VALU_DEP_1)
	s_mov_b32 s0, exec_lo
	v_cmpx_gt_u32_e32 8, v16
	s_xor_b32 s4, exec_lo, s0
	s_cbranch_execz .LBB1_53
; %bb.48:                               ;   in Loop: Header=BB1_31 Depth=1
	v_mov_b32_e32 v14, 0
	v_mov_b32_e32 v15, 0
	s_mov_b32 s5, exec_lo
	v_cmpx_ne_u32_e32 0, v16
	s_cbranch_execz .LBB1_52
; %bb.49:                               ;   in Loop: Header=BB1_31 Depth=1
	v_mov_b32_e32 v14, 0
	v_mov_b32_e32 v15, 0
	s_mov_b64 s[0:1], 0
	s_mov_b32 s6, 0
	s_mov_b32 s7, 0
	.p2align	6
.LBB1_50:                               ;   Parent Loop BB1_31 Depth=1
                                        ; =>  This Inner Loop Header: Depth=2
	s_delay_alu instid0(SALU_CYCLE_1) | instskip(SKIP_1) | instid1(SALU_CYCLE_1)
	v_dual_mov_b32 v18, s11 :: v_dual_add_nc_u32 v17, s7, v8
	s_add_i32 s7, s7, 1
	v_cmp_eq_u32_e32 vcc_lo, s7, v16
	scratch_load_u8 v17, v17, off
	s_waitcnt vmcnt(0)
	v_and_b32_e32 v17, 0xffff, v17
	s_delay_alu instid0(VALU_DEP_1) | instskip(SKIP_3) | instid1(VALU_DEP_1)
	v_lshlrev_b64 v[17:18], s0, v[17:18]
	s_add_u32 s0, s0, 8
	s_addc_u32 s1, s1, 0
	s_or_b32 s6, vcc_lo, s6
	v_or_b32_e32 v15, v18, v15
	s_delay_alu instid0(VALU_DEP_2)
	v_or_b32_e32 v14, v17, v14
	s_and_not1_b32 exec_lo, exec_lo, s6
	s_cbranch_execnz .LBB1_50
; %bb.51:                               ;   in Loop: Header=BB1_31 Depth=1
	s_or_b32 exec_lo, exec_lo, s6
.LBB1_52:                               ;   in Loop: Header=BB1_31 Depth=1
	s_delay_alu instid0(SALU_CYCLE_1)
	s_or_b32 exec_lo, exec_lo, s5
	s_mov_b32 s1, 0
                                        ; implicit-def: $vgpr16
.LBB1_53:                               ;   in Loop: Header=BB1_31 Depth=1
	s_or_saveexec_b32 s0, s4
	v_mov_b32_e32 v18, s1
	s_xor_b32 exec_lo, exec_lo, s0
	s_cbranch_execz .LBB1_55
; %bb.54:                               ;   in Loop: Header=BB1_31 Depth=1
	scratch_load_b64 v[14:15], v8, off
	v_add_nc_u32_e32 v8, 8, v8
	s_waitcnt vmcnt(0)
	v_and_b32_e32 v17, 0xff, v15
	v_and_b32_e32 v18, 0xff00, v15
	;; [unrolled: 1-line block ×4, first 2 shown]
	v_or3_b32 v14, v14, 0, 0
	s_delay_alu instid0(VALU_DEP_4) | instskip(SKIP_1) | instid1(VALU_DEP_2)
	v_or_b32_e32 v17, v17, v18
	v_add_nc_u32_e32 v18, -8, v16
	v_or3_b32 v15, v17, v19, v15
.LBB1_55:                               ;   in Loop: Header=BB1_31 Depth=1
	s_or_b32 exec_lo, exec_lo, s0
                                        ; implicit-def: $vgpr16_vgpr17
                                        ; implicit-def: $sgpr1
	s_delay_alu instid0(SALU_CYCLE_1) | instskip(NEXT) | instid1(VALU_DEP_1)
	s_mov_b32 s0, exec_lo
	v_cmpx_gt_u32_e32 8, v18
	s_xor_b32 s4, exec_lo, s0
	s_cbranch_execz .LBB1_61
; %bb.56:                               ;   in Loop: Header=BB1_31 Depth=1
	v_mov_b32_e32 v16, 0
	v_mov_b32_e32 v17, 0
	s_mov_b32 s5, exec_lo
	v_cmpx_ne_u32_e32 0, v18
	s_cbranch_execz .LBB1_60
; %bb.57:                               ;   in Loop: Header=BB1_31 Depth=1
	v_mov_b32_e32 v16, 0
	v_mov_b32_e32 v17, 0
	s_mov_b64 s[0:1], 0
	s_mov_b32 s6, 0
	s_mov_b32 s7, 0
	.p2align	6
.LBB1_58:                               ;   Parent Loop BB1_31 Depth=1
                                        ; =>  This Inner Loop Header: Depth=2
	s_delay_alu instid0(SALU_CYCLE_1) | instskip(SKIP_1) | instid1(SALU_CYCLE_1)
	v_dual_mov_b32 v20, s11 :: v_dual_add_nc_u32 v19, s7, v8
	s_add_i32 s7, s7, 1
	v_cmp_eq_u32_e32 vcc_lo, s7, v18
	scratch_load_u8 v19, v19, off
	s_waitcnt vmcnt(0)
	v_and_b32_e32 v19, 0xffff, v19
	s_delay_alu instid0(VALU_DEP_1) | instskip(SKIP_3) | instid1(VALU_DEP_1)
	v_lshlrev_b64 v[19:20], s0, v[19:20]
	s_add_u32 s0, s0, 8
	s_addc_u32 s1, s1, 0
	s_or_b32 s6, vcc_lo, s6
	v_or_b32_e32 v17, v20, v17
	s_delay_alu instid0(VALU_DEP_2)
	v_or_b32_e32 v16, v19, v16
	s_and_not1_b32 exec_lo, exec_lo, s6
	s_cbranch_execnz .LBB1_58
; %bb.59:                               ;   in Loop: Header=BB1_31 Depth=1
	s_or_b32 exec_lo, exec_lo, s6
.LBB1_60:                               ;   in Loop: Header=BB1_31 Depth=1
	s_delay_alu instid0(SALU_CYCLE_1)
	s_or_b32 exec_lo, exec_lo, s5
	s_mov_b32 s1, 0
                                        ; implicit-def: $vgpr18
.LBB1_61:                               ;   in Loop: Header=BB1_31 Depth=1
	s_or_saveexec_b32 s0, s4
	v_mov_b32_e32 v20, s1
	s_xor_b32 exec_lo, exec_lo, s0
	s_cbranch_execz .LBB1_63
; %bb.62:                               ;   in Loop: Header=BB1_31 Depth=1
	scratch_load_b64 v[16:17], v8, off
	v_add_nc_u32_e32 v8, 8, v8
	s_waitcnt vmcnt(0)
	v_and_b32_e32 v19, 0xff, v17
	v_and_b32_e32 v20, 0xff00, v17
	v_and_b32_e32 v21, 0xff0000, v17
	v_and_b32_e32 v17, 0xff000000, v17
	v_or3_b32 v16, v16, 0, 0
	s_delay_alu instid0(VALU_DEP_4) | instskip(SKIP_1) | instid1(VALU_DEP_2)
	v_or_b32_e32 v19, v19, v20
	v_add_nc_u32_e32 v20, -8, v18
	v_or3_b32 v17, v19, v21, v17
.LBB1_63:                               ;   in Loop: Header=BB1_31 Depth=1
	s_or_b32 exec_lo, exec_lo, s0
                                        ; implicit-def: $sgpr1
	s_delay_alu instid0(SALU_CYCLE_1) | instskip(NEXT) | instid1(VALU_DEP_1)
	s_mov_b32 s0, exec_lo
	v_cmpx_gt_u32_e32 8, v20
	s_xor_b32 s4, exec_lo, s0
	s_cbranch_execz .LBB1_69
; %bb.64:                               ;   in Loop: Header=BB1_31 Depth=1
	v_mov_b32_e32 v18, 0
	v_mov_b32_e32 v19, 0
	s_mov_b32 s5, exec_lo
	v_cmpx_ne_u32_e32 0, v20
	s_cbranch_execz .LBB1_68
; %bb.65:                               ;   in Loop: Header=BB1_31 Depth=1
	v_mov_b32_e32 v18, 0
	v_mov_b32_e32 v19, 0
	s_mov_b64 s[0:1], 0
	s_mov_b32 s6, 0
	s_mov_b32 s7, 0
	.p2align	6
.LBB1_66:                               ;   Parent Loop BB1_31 Depth=1
                                        ; =>  This Inner Loop Header: Depth=2
	s_delay_alu instid0(SALU_CYCLE_1) | instskip(SKIP_1) | instid1(SALU_CYCLE_1)
	v_dual_mov_b32 v22, s11 :: v_dual_add_nc_u32 v21, s7, v8
	s_add_i32 s7, s7, 1
	v_cmp_eq_u32_e32 vcc_lo, s7, v20
	scratch_load_u8 v21, v21, off
	s_waitcnt vmcnt(0)
	v_and_b32_e32 v21, 0xffff, v21
	s_delay_alu instid0(VALU_DEP_1) | instskip(SKIP_3) | instid1(VALU_DEP_1)
	v_lshlrev_b64 v[21:22], s0, v[21:22]
	s_add_u32 s0, s0, 8
	s_addc_u32 s1, s1, 0
	s_or_b32 s6, vcc_lo, s6
	v_or_b32_e32 v19, v22, v19
	s_delay_alu instid0(VALU_DEP_2)
	v_or_b32_e32 v18, v21, v18
	s_and_not1_b32 exec_lo, exec_lo, s6
	s_cbranch_execnz .LBB1_66
; %bb.67:                               ;   in Loop: Header=BB1_31 Depth=1
	s_or_b32 exec_lo, exec_lo, s6
.LBB1_68:                               ;   in Loop: Header=BB1_31 Depth=1
	s_delay_alu instid0(SALU_CYCLE_1)
	s_or_b32 exec_lo, exec_lo, s5
	s_mov_b32 s1, 0
                                        ; implicit-def: $vgpr20
.LBB1_69:                               ;   in Loop: Header=BB1_31 Depth=1
	s_or_saveexec_b32 s0, s4
	v_mov_b32_e32 v22, s1
	s_xor_b32 exec_lo, exec_lo, s0
	s_cbranch_execz .LBB1_71
; %bb.70:                               ;   in Loop: Header=BB1_31 Depth=1
	scratch_load_b64 v[18:19], v8, off
	v_add_nc_u32_e32 v8, 8, v8
	s_waitcnt vmcnt(0)
	v_and_b32_e32 v21, 0xff, v19
	v_and_b32_e32 v22, 0xff00, v19
	v_and_b32_e32 v23, 0xff0000, v19
	v_and_b32_e32 v19, 0xff000000, v19
	v_or3_b32 v18, v18, 0, 0
	s_delay_alu instid0(VALU_DEP_4) | instskip(SKIP_1) | instid1(VALU_DEP_2)
	v_or_b32_e32 v21, v21, v22
	v_add_nc_u32_e32 v22, -8, v20
	v_or3_b32 v19, v21, v23, v19
.LBB1_71:                               ;   in Loop: Header=BB1_31 Depth=1
	s_or_b32 exec_lo, exec_lo, s0
                                        ; implicit-def: $vgpr20_vgpr21
                                        ; implicit-def: $sgpr1
	s_delay_alu instid0(SALU_CYCLE_1) | instskip(NEXT) | instid1(VALU_DEP_1)
	s_mov_b32 s0, exec_lo
	v_cmpx_gt_u32_e32 8, v22
	s_xor_b32 s4, exec_lo, s0
	s_cbranch_execz .LBB1_77
; %bb.72:                               ;   in Loop: Header=BB1_31 Depth=1
	v_mov_b32_e32 v20, 0
	v_mov_b32_e32 v21, 0
	s_mov_b32 s5, exec_lo
	v_cmpx_ne_u32_e32 0, v22
	s_cbranch_execz .LBB1_76
; %bb.73:                               ;   in Loop: Header=BB1_31 Depth=1
	v_mov_b32_e32 v20, 0
	v_mov_b32_e32 v21, 0
	s_mov_b64 s[0:1], 0
	s_mov_b32 s6, 0
	s_mov_b32 s7, 0
	.p2align	6
.LBB1_74:                               ;   Parent Loop BB1_31 Depth=1
                                        ; =>  This Inner Loop Header: Depth=2
	s_delay_alu instid0(SALU_CYCLE_1) | instskip(SKIP_1) | instid1(SALU_CYCLE_1)
	v_dual_mov_b32 v24, s11 :: v_dual_add_nc_u32 v23, s7, v8
	s_add_i32 s7, s7, 1
	v_cmp_eq_u32_e32 vcc_lo, s7, v22
	scratch_load_u8 v23, v23, off
	s_waitcnt vmcnt(0)
	v_and_b32_e32 v23, 0xffff, v23
	s_delay_alu instid0(VALU_DEP_1) | instskip(SKIP_3) | instid1(VALU_DEP_1)
	v_lshlrev_b64 v[23:24], s0, v[23:24]
	s_add_u32 s0, s0, 8
	s_addc_u32 s1, s1, 0
	s_or_b32 s6, vcc_lo, s6
	v_or_b32_e32 v21, v24, v21
	s_delay_alu instid0(VALU_DEP_2)
	v_or_b32_e32 v20, v23, v20
	s_and_not1_b32 exec_lo, exec_lo, s6
	s_cbranch_execnz .LBB1_74
; %bb.75:                               ;   in Loop: Header=BB1_31 Depth=1
	s_or_b32 exec_lo, exec_lo, s6
.LBB1_76:                               ;   in Loop: Header=BB1_31 Depth=1
	s_delay_alu instid0(SALU_CYCLE_1)
	s_or_b32 exec_lo, exec_lo, s5
	s_mov_b32 s1, 0
                                        ; implicit-def: $vgpr22
.LBB1_77:                               ;   in Loop: Header=BB1_31 Depth=1
	s_or_saveexec_b32 s0, s4
	v_mov_b32_e32 v24, s1
	s_xor_b32 exec_lo, exec_lo, s0
	s_cbranch_execz .LBB1_79
; %bb.78:                               ;   in Loop: Header=BB1_31 Depth=1
	scratch_load_b64 v[20:21], v8, off
	v_add_nc_u32_e32 v8, 8, v8
	s_waitcnt vmcnt(0)
	v_and_b32_e32 v23, 0xff, v21
	v_and_b32_e32 v24, 0xff00, v21
	;; [unrolled: 1-line block ×4, first 2 shown]
	v_or3_b32 v20, v20, 0, 0
	s_delay_alu instid0(VALU_DEP_4) | instskip(SKIP_1) | instid1(VALU_DEP_2)
	v_or_b32_e32 v23, v23, v24
	v_add_nc_u32_e32 v24, -8, v22
	v_or3_b32 v21, v23, v25, v21
.LBB1_79:                               ;   in Loop: Header=BB1_31 Depth=1
	s_or_b32 exec_lo, exec_lo, s0
	s_delay_alu instid0(SALU_CYCLE_1) | instskip(NEXT) | instid1(VALU_DEP_1)
	s_mov_b32 s0, exec_lo
	v_cmpx_gt_u32_e32 8, v24
	s_xor_b32 s4, exec_lo, s0
	s_cbranch_execz .LBB1_85
; %bb.80:                               ;   in Loop: Header=BB1_31 Depth=1
	v_mov_b32_e32 v22, 0
	v_mov_b32_e32 v23, 0
	s_mov_b32 s5, exec_lo
	v_cmpx_ne_u32_e32 0, v24
	s_cbranch_execz .LBB1_84
; %bb.81:                               ;   in Loop: Header=BB1_31 Depth=1
	v_mov_b32_e32 v22, 0
	v_mov_b32_e32 v23, 0
	s_mov_b64 s[0:1], 0
	s_mov_b32 s6, 0
	.p2align	6
.LBB1_82:                               ;   Parent Loop BB1_31 Depth=1
                                        ; =>  This Inner Loop Header: Depth=2
	scratch_load_u8 v25, v8, off
	v_mov_b32_e32 v26, s11
	v_add_nc_u32_e32 v24, -1, v24
	v_add_nc_u32_e32 v8, 1, v8
	s_delay_alu instid0(VALU_DEP_2) | instskip(SKIP_2) | instid1(VALU_DEP_1)
	v_cmp_eq_u32_e32 vcc_lo, 0, v24
	s_waitcnt vmcnt(0)
	v_and_b32_e32 v25, 0xffff, v25
	v_lshlrev_b64 v[25:26], s0, v[25:26]
	s_add_u32 s0, s0, 8
	s_addc_u32 s1, s1, 0
	s_or_b32 s6, vcc_lo, s6
	s_delay_alu instid0(VALU_DEP_1) | instskip(NEXT) | instid1(VALU_DEP_2)
	v_or_b32_e32 v23, v26, v23
	v_or_b32_e32 v22, v25, v22
	s_and_not1_b32 exec_lo, exec_lo, s6
	s_cbranch_execnz .LBB1_82
; %bb.83:                               ;   in Loop: Header=BB1_31 Depth=1
	s_or_b32 exec_lo, exec_lo, s6
.LBB1_84:                               ;   in Loop: Header=BB1_31 Depth=1
	s_delay_alu instid0(SALU_CYCLE_1)
	s_or_b32 exec_lo, exec_lo, s5
                                        ; implicit-def: $vgpr8
.LBB1_85:                               ;   in Loop: Header=BB1_31 Depth=1
	s_and_not1_saveexec_b32 s0, s4
	s_cbranch_execz .LBB1_87
; %bb.86:                               ;   in Loop: Header=BB1_31 Depth=1
	scratch_load_b64 v[22:23], v8, off
	s_waitcnt vmcnt(0)
	v_and_b32_e32 v8, 0xff, v23
	v_and_b32_e32 v24, 0xff00, v23
	v_and_b32_e32 v25, 0xff0000, v23
	v_and_b32_e32 v23, 0xff000000, v23
	v_or3_b32 v22, v22, 0, 0
	s_delay_alu instid0(VALU_DEP_4) | instskip(NEXT) | instid1(VALU_DEP_1)
	v_or_b32_e32 v8, v8, v24
	v_or3_b32 v23, v8, v25, v23
.LBB1_87:                               ;   in Loop: Header=BB1_31 Depth=1
	s_or_b32 exec_lo, exec_lo, s0
	v_readfirstlane_b32 s0, v35
	v_mov_b32_e32 v32, 0
	v_mov_b32_e32 v33, 0
	s_delay_alu instid0(VALU_DEP_3) | instskip(NEXT) | instid1(VALU_DEP_1)
	v_cmp_eq_u32_e64 s0, s0, v35
	s_and_saveexec_b32 s1, s0
	s_cbranch_execz .LBB1_93
; %bb.88:                               ;   in Loop: Header=BB1_31 Depth=1
	global_load_b64 v[26:27], v9, s[2:3] offset:24 glc
	s_waitcnt vmcnt(0)
	buffer_gl1_inv
	buffer_gl0_inv
	s_clause 0x1
	global_load_b64 v[24:25], v9, s[2:3] offset:40
	global_load_b64 v[32:33], v9, s[2:3]
	s_mov_b32 s4, exec_lo
	s_waitcnt vmcnt(1)
	v_and_b32_e32 v8, v25, v27
	v_and_b32_e32 v24, v24, v26
	s_delay_alu instid0(VALU_DEP_2) | instskip(NEXT) | instid1(VALU_DEP_2)
	v_mul_lo_u32 v8, v8, 24
	v_mul_hi_u32 v25, v24, 24
	v_mul_lo_u32 v24, v24, 24
	s_delay_alu instid0(VALU_DEP_2) | instskip(SKIP_1) | instid1(VALU_DEP_2)
	v_add_nc_u32_e32 v8, v25, v8
	s_waitcnt vmcnt(0)
	v_add_co_u32 v24, vcc_lo, v32, v24
	s_delay_alu instid0(VALU_DEP_2)
	v_add_co_ci_u32_e32 v25, vcc_lo, v33, v8, vcc_lo
	global_load_b64 v[24:25], v[24:25], off glc
	s_waitcnt vmcnt(0)
	global_atomic_cmpswap_b64 v[32:33], v9, v[24:27], s[2:3] offset:24 glc
	s_waitcnt vmcnt(0)
	buffer_gl1_inv
	buffer_gl0_inv
	v_cmpx_ne_u64_e64 v[32:33], v[26:27]
	s_cbranch_execz .LBB1_92
; %bb.89:                               ;   in Loop: Header=BB1_31 Depth=1
	s_mov_b32 s5, 0
	.p2align	6
.LBB1_90:                               ;   Parent Loop BB1_31 Depth=1
                                        ; =>  This Inner Loop Header: Depth=2
	s_sleep 1
	s_clause 0x1
	global_load_b64 v[24:25], v9, s[2:3] offset:40
	global_load_b64 v[38:39], v9, s[2:3]
	v_dual_mov_b32 v26, v32 :: v_dual_mov_b32 v27, v33
	s_waitcnt vmcnt(1)
	s_delay_alu instid0(VALU_DEP_1) | instskip(SKIP_1) | instid1(VALU_DEP_1)
	v_and_b32_e32 v8, v24, v26
	s_waitcnt vmcnt(0)
	v_mad_u64_u32 v[32:33], null, v8, 24, v[38:39]
	v_and_b32_e32 v38, v25, v27
	s_delay_alu instid0(VALU_DEP_2) | instskip(NEXT) | instid1(VALU_DEP_1)
	v_mov_b32_e32 v8, v33
	v_mad_u64_u32 v[24:25], null, v38, 24, v[8:9]
	s_delay_alu instid0(VALU_DEP_1)
	v_mov_b32_e32 v33, v24
	global_load_b64 v[24:25], v[32:33], off glc
	s_waitcnt vmcnt(0)
	global_atomic_cmpswap_b64 v[32:33], v9, v[24:27], s[2:3] offset:24 glc
	s_waitcnt vmcnt(0)
	buffer_gl1_inv
	buffer_gl0_inv
	v_cmp_eq_u64_e32 vcc_lo, v[32:33], v[26:27]
	s_or_b32 s5, vcc_lo, s5
	s_delay_alu instid0(SALU_CYCLE_1)
	s_and_not1_b32 exec_lo, exec_lo, s5
	s_cbranch_execnz .LBB1_90
; %bb.91:                               ;   in Loop: Header=BB1_31 Depth=1
	s_or_b32 exec_lo, exec_lo, s5
.LBB1_92:                               ;   in Loop: Header=BB1_31 Depth=1
	s_delay_alu instid0(SALU_CYCLE_1)
	s_or_b32 exec_lo, exec_lo, s4
.LBB1_93:                               ;   in Loop: Header=BB1_31 Depth=1
	s_delay_alu instid0(SALU_CYCLE_1)
	s_or_b32 exec_lo, exec_lo, s1
	s_clause 0x1
	global_load_b64 v[38:39], v9, s[2:3] offset:40
	global_load_b128 v[24:27], v9, s[2:3]
	v_readfirstlane_b32 s4, v32
	v_readfirstlane_b32 s5, v33
	s_mov_b32 s1, exec_lo
	s_waitcnt vmcnt(1)
	v_readfirstlane_b32 s6, v38
	v_readfirstlane_b32 s7, v39
	s_delay_alu instid0(VALU_DEP_1) | instskip(NEXT) | instid1(SALU_CYCLE_1)
	s_and_b64 s[6:7], s[4:5], s[6:7]
	s_mul_i32 s12, s7, 24
	s_mul_hi_u32 s13, s6, 24
	s_mul_i32 s14, s6, 24
	s_add_i32 s13, s13, s12
	s_waitcnt vmcnt(0)
	v_add_co_u32 v32, vcc_lo, v24, s14
	v_add_co_ci_u32_e32 v33, vcc_lo, s13, v25, vcc_lo
	s_and_saveexec_b32 s12, s0
	s_cbranch_execz .LBB1_95
; %bb.94:                               ;   in Loop: Header=BB1_31 Depth=1
	v_mov_b32_e32 v8, s1
	global_store_b128 v[32:33], v[8:11], off offset:8
.LBB1_95:                               ;   in Loop: Header=BB1_31 Depth=1
	s_or_b32 exec_lo, exec_lo, s12
	v_cmp_lt_u64_e32 vcc_lo, 56, v[28:29]
	v_or_b32_e32 v8, 0, v1
	v_or_b32_e32 v38, v0, v36
	v_lshl_add_u32 v39, v30, 2, 28
	s_lshl_b64 s[6:7], s[6:7], 12
	s_delay_alu instid0(SALU_CYCLE_1) | instskip(NEXT) | instid1(VALU_DEP_1)
	v_add_co_u32 v26, s1, v26, s6
	v_add_co_ci_u32_e64 v27, s1, s7, v27, s1
	v_dual_cndmask_b32 v1, v8, v1 :: v_dual_cndmask_b32 v0, v38, v0
	v_and_b32_e32 v8, 0x1e0, v39
	s_delay_alu instid0(VALU_DEP_4) | instskip(NEXT) | instid1(VALU_DEP_4)
	v_readfirstlane_b32 s6, v26
	v_readfirstlane_b32 s7, v27
	s_delay_alu instid0(VALU_DEP_3)
	v_and_or_b32 v0, 0xffffff1f, v0, v8
	s_clause 0x3
	global_store_b128 v34, v[0:3], s[6:7]
	global_store_b128 v34, v[12:15], s[6:7] offset:16
	global_store_b128 v34, v[16:19], s[6:7] offset:32
	;; [unrolled: 1-line block ×3, first 2 shown]
	s_and_saveexec_b32 s1, s0
	s_cbranch_execz .LBB1_103
; %bb.96:                               ;   in Loop: Header=BB1_31 Depth=1
	s_clause 0x1
	global_load_b64 v[16:17], v9, s[2:3] offset:32 glc
	global_load_b64 v[0:1], v9, s[2:3] offset:40
	v_dual_mov_b32 v14, s4 :: v_dual_mov_b32 v15, s5
	s_waitcnt vmcnt(0)
	v_readfirstlane_b32 s6, v0
	v_readfirstlane_b32 s7, v1
	s_delay_alu instid0(VALU_DEP_1) | instskip(NEXT) | instid1(SALU_CYCLE_1)
	s_and_b64 s[6:7], s[6:7], s[4:5]
	s_mul_i32 s7, s7, 24
	s_mul_hi_u32 s12, s6, 24
	s_mul_i32 s6, s6, 24
	s_add_i32 s12, s12, s7
	v_add_co_u32 v12, vcc_lo, v24, s6
	v_add_co_ci_u32_e32 v13, vcc_lo, s12, v25, vcc_lo
	s_mov_b32 s6, exec_lo
	global_store_b64 v[12:13], v[16:17], off
	s_waitcnt_vscnt null, 0x0
	global_atomic_cmpswap_b64 v[2:3], v9, v[14:17], s[2:3] offset:32 glc
	s_waitcnt vmcnt(0)
	v_cmpx_ne_u64_e64 v[2:3], v[16:17]
	s_cbranch_execz .LBB1_99
; %bb.97:                               ;   in Loop: Header=BB1_31 Depth=1
	s_mov_b32 s7, 0
.LBB1_98:                               ;   Parent Loop BB1_31 Depth=1
                                        ; =>  This Inner Loop Header: Depth=2
	v_dual_mov_b32 v0, s4 :: v_dual_mov_b32 v1, s5
	s_sleep 1
	global_store_b64 v[12:13], v[2:3], off
	s_waitcnt_vscnt null, 0x0
	global_atomic_cmpswap_b64 v[0:1], v9, v[0:3], s[2:3] offset:32 glc
	s_waitcnt vmcnt(0)
	v_cmp_eq_u64_e32 vcc_lo, v[0:1], v[2:3]
	v_dual_mov_b32 v3, v1 :: v_dual_mov_b32 v2, v0
	s_or_b32 s7, vcc_lo, s7
	s_delay_alu instid0(SALU_CYCLE_1)
	s_and_not1_b32 exec_lo, exec_lo, s7
	s_cbranch_execnz .LBB1_98
.LBB1_99:                               ;   in Loop: Header=BB1_31 Depth=1
	s_or_b32 exec_lo, exec_lo, s6
	global_load_b64 v[0:1], v9, s[2:3] offset:16
	s_mov_b32 s7, exec_lo
	s_mov_b32 s6, exec_lo
	v_mbcnt_lo_u32_b32 v2, s7, 0
	s_delay_alu instid0(VALU_DEP_1)
	v_cmpx_eq_u32_e32 0, v2
	s_cbranch_execz .LBB1_101
; %bb.100:                              ;   in Loop: Header=BB1_31 Depth=1
	s_bcnt1_i32_b32 s7, s7
	s_delay_alu instid0(SALU_CYCLE_1)
	v_mov_b32_e32 v8, s7
	s_waitcnt vmcnt(0)
	global_atomic_add_u64 v[0:1], v[8:9], off offset:8
.LBB1_101:                              ;   in Loop: Header=BB1_31 Depth=1
	s_or_b32 exec_lo, exec_lo, s6
	s_waitcnt vmcnt(0)
	global_load_b64 v[2:3], v[0:1], off offset:16
	s_waitcnt vmcnt(0)
	v_cmp_eq_u64_e32 vcc_lo, 0, v[2:3]
	s_cbranch_vccnz .LBB1_103
; %bb.102:                              ;   in Loop: Header=BB1_31 Depth=1
	global_load_b32 v8, v[0:1], off offset:24
	s_waitcnt vmcnt(0)
	v_and_b32_e32 v0, 0xffffff, v8
	s_waitcnt_vscnt null, 0x0
	global_store_b64 v[2:3], v[8:9], off
	v_readfirstlane_b32 m0, v0
	s_sendmsg sendmsg(MSG_INTERRUPT)
.LBB1_103:                              ;   in Loop: Header=BB1_31 Depth=1
	s_or_b32 exec_lo, exec_lo, s1
	v_add_co_u32 v0, vcc_lo, v26, v34
	v_add_co_ci_u32_e32 v1, vcc_lo, 0, v27, vcc_lo
	s_branch .LBB1_107
	.p2align	6
.LBB1_104:                              ;   in Loop: Header=BB1_107 Depth=2
	s_or_b32 exec_lo, exec_lo, s1
	s_delay_alu instid0(VALU_DEP_1) | instskip(NEXT) | instid1(VALU_DEP_1)
	v_readfirstlane_b32 s1, v2
	s_cmp_eq_u32 s1, 0
	s_cbranch_scc1 .LBB1_106
; %bb.105:                              ;   in Loop: Header=BB1_107 Depth=2
	s_sleep 1
	s_cbranch_execnz .LBB1_107
	s_branch .LBB1_109
	.p2align	6
.LBB1_106:                              ;   in Loop: Header=BB1_31 Depth=1
	s_branch .LBB1_109
.LBB1_107:                              ;   Parent Loop BB1_31 Depth=1
                                        ; =>  This Inner Loop Header: Depth=2
	v_mov_b32_e32 v2, 1
	s_and_saveexec_b32 s1, s0
	s_cbranch_execz .LBB1_104
; %bb.108:                              ;   in Loop: Header=BB1_107 Depth=2
	global_load_b32 v2, v[32:33], off offset:20 glc
	s_waitcnt vmcnt(0)
	buffer_gl1_inv
	buffer_gl0_inv
	v_and_b32_e32 v2, 1, v2
	s_branch .LBB1_104
.LBB1_109:                              ;   in Loop: Header=BB1_31 Depth=1
	global_load_b128 v[0:3], v[0:1], off
	s_and_saveexec_b32 s1, s0
	s_cbranch_execz .LBB1_30
; %bb.110:                              ;   in Loop: Header=BB1_31 Depth=1
	s_clause 0x2
	global_load_b64 v[2:3], v9, s[2:3] offset:40
	global_load_b64 v[16:17], v9, s[2:3] offset:24 glc
	global_load_b64 v[14:15], v9, s[2:3]
	s_waitcnt vmcnt(2)
	v_add_co_u32 v8, vcc_lo, v2, 1
	v_add_co_ci_u32_e32 v18, vcc_lo, 0, v3, vcc_lo
	s_delay_alu instid0(VALU_DEP_2) | instskip(NEXT) | instid1(VALU_DEP_2)
	v_add_co_u32 v12, vcc_lo, v8, s4
	v_add_co_ci_u32_e32 v13, vcc_lo, s5, v18, vcc_lo
	s_delay_alu instid0(VALU_DEP_1) | instskip(SKIP_1) | instid1(VALU_DEP_1)
	v_cmp_eq_u64_e32 vcc_lo, 0, v[12:13]
	v_dual_cndmask_b32 v13, v13, v18 :: v_dual_cndmask_b32 v12, v12, v8
	v_and_b32_e32 v3, v13, v3
	s_delay_alu instid0(VALU_DEP_2) | instskip(NEXT) | instid1(VALU_DEP_1)
	v_and_b32_e32 v2, v12, v2
	v_mul_hi_u32 v8, v2, 24
	v_mul_lo_u32 v2, v2, 24
	s_waitcnt vmcnt(0)
	s_delay_alu instid0(VALU_DEP_1) | instskip(SKIP_2) | instid1(VALU_DEP_1)
	v_add_co_u32 v2, vcc_lo, v14, v2
	v_mov_b32_e32 v14, v16
	v_mul_lo_u32 v3, v3, 24
	v_add_nc_u32_e32 v3, v8, v3
	s_delay_alu instid0(VALU_DEP_1)
	v_add_co_ci_u32_e32 v3, vcc_lo, v15, v3, vcc_lo
	v_mov_b32_e32 v15, v17
	global_store_b64 v[2:3], v[16:17], off
	s_waitcnt_vscnt null, 0x0
	global_atomic_cmpswap_b64 v[14:15], v9, v[12:15], s[2:3] offset:24 glc
	s_waitcnt vmcnt(0)
	v_cmp_ne_u64_e32 vcc_lo, v[14:15], v[16:17]
	s_and_b32 exec_lo, exec_lo, vcc_lo
	s_cbranch_execz .LBB1_30
; %bb.111:                              ;   in Loop: Header=BB1_31 Depth=1
	s_mov_b32 s0, 0
.LBB1_112:                              ;   Parent Loop BB1_31 Depth=1
                                        ; =>  This Inner Loop Header: Depth=2
	s_sleep 1
	global_store_b64 v[2:3], v[14:15], off
	s_waitcnt_vscnt null, 0x0
	global_atomic_cmpswap_b64 v[16:17], v9, v[12:15], s[2:3] offset:24 glc
	s_waitcnt vmcnt(0)
	v_cmp_eq_u64_e32 vcc_lo, v[16:17], v[14:15]
	v_dual_mov_b32 v14, v16 :: v_dual_mov_b32 v15, v17
	s_or_b32 s0, vcc_lo, s0
	s_delay_alu instid0(SALU_CYCLE_1)
	s_and_not1_b32 exec_lo, exec_lo, s0
	s_cbranch_execnz .LBB1_112
	s_branch .LBB1_30
.LBB1_113:
                                        ; implicit-def: $vgpr0_vgpr1
	s_cbranch_execnz .LBB1_115
	s_branch .LBB1_142
.LBB1_114:
	s_or_b32 exec_lo, exec_lo, s10
	s_branch .LBB1_142
.LBB1_115:
	v_readfirstlane_b32 s0, v35
	v_mov_b32_e32 v9, 0
	v_mov_b32_e32 v10, 0
	s_delay_alu instid0(VALU_DEP_3) | instskip(NEXT) | instid1(VALU_DEP_1)
	v_cmp_eq_u32_e64 s0, s0, v35
	s_and_saveexec_b32 s1, s0
	s_cbranch_execz .LBB1_121
; %bb.116:
	s_waitcnt vmcnt(0)
	v_mov_b32_e32 v0, 0
	s_mov_b32 s4, exec_lo
	global_load_b64 v[11:12], v0, s[2:3] offset:24 glc
	s_waitcnt vmcnt(0)
	buffer_gl1_inv
	buffer_gl0_inv
	s_clause 0x1
	global_load_b64 v[1:2], v0, s[2:3] offset:40
	global_load_b64 v[8:9], v0, s[2:3]
	s_waitcnt vmcnt(1)
	v_and_b32_e32 v1, v1, v11
	v_and_b32_e32 v2, v2, v12
	s_delay_alu instid0(VALU_DEP_2) | instskip(NEXT) | instid1(VALU_DEP_2)
	v_mul_hi_u32 v3, v1, 24
	v_mul_lo_u32 v2, v2, 24
	v_mul_lo_u32 v1, v1, 24
	s_delay_alu instid0(VALU_DEP_2) | instskip(SKIP_1) | instid1(VALU_DEP_2)
	v_add_nc_u32_e32 v2, v3, v2
	s_waitcnt vmcnt(0)
	v_add_co_u32 v1, vcc_lo, v8, v1
	s_delay_alu instid0(VALU_DEP_2)
	v_add_co_ci_u32_e32 v2, vcc_lo, v9, v2, vcc_lo
	global_load_b64 v[9:10], v[1:2], off glc
	s_waitcnt vmcnt(0)
	global_atomic_cmpswap_b64 v[9:10], v0, v[9:12], s[2:3] offset:24 glc
	s_waitcnt vmcnt(0)
	buffer_gl1_inv
	buffer_gl0_inv
	v_cmpx_ne_u64_e64 v[9:10], v[11:12]
	s_cbranch_execz .LBB1_120
; %bb.117:
	s_mov_b32 s5, 0
	.p2align	6
.LBB1_118:                              ; =>This Inner Loop Header: Depth=1
	s_sleep 1
	s_clause 0x1
	global_load_b64 v[1:2], v0, s[2:3] offset:40
	global_load_b64 v[13:14], v0, s[2:3]
	v_dual_mov_b32 v12, v10 :: v_dual_mov_b32 v11, v9
	s_waitcnt vmcnt(1)
	s_delay_alu instid0(VALU_DEP_1) | instskip(SKIP_1) | instid1(VALU_DEP_1)
	v_and_b32_e32 v1, v1, v11
	s_waitcnt vmcnt(0)
	v_mad_u64_u32 v[8:9], null, v1, 24, v[13:14]
	s_delay_alu instid0(VALU_DEP_1) | instskip(NEXT) | instid1(VALU_DEP_1)
	v_dual_mov_b32 v1, v9 :: v_dual_and_b32 v10, v2, v12
	v_mad_u64_u32 v[2:3], null, v10, 24, v[1:2]
	s_delay_alu instid0(VALU_DEP_1)
	v_mov_b32_e32 v9, v2
	global_load_b64 v[9:10], v[8:9], off glc
	s_waitcnt vmcnt(0)
	global_atomic_cmpswap_b64 v[9:10], v0, v[9:12], s[2:3] offset:24 glc
	s_waitcnt vmcnt(0)
	buffer_gl1_inv
	buffer_gl0_inv
	v_cmp_eq_u64_e32 vcc_lo, v[9:10], v[11:12]
	s_or_b32 s5, vcc_lo, s5
	s_delay_alu instid0(SALU_CYCLE_1)
	s_and_not1_b32 exec_lo, exec_lo, s5
	s_cbranch_execnz .LBB1_118
; %bb.119:
	s_or_b32 exec_lo, exec_lo, s5
.LBB1_120:
	s_delay_alu instid0(SALU_CYCLE_1)
	s_or_b32 exec_lo, exec_lo, s4
.LBB1_121:
	s_delay_alu instid0(SALU_CYCLE_1)
	s_or_b32 exec_lo, exec_lo, s1
	v_mov_b32_e32 v8, 0
	v_readfirstlane_b32 s4, v9
	v_readfirstlane_b32 s5, v10
	s_mov_b32 s1, exec_lo
	s_clause 0x1
	global_load_b64 v[11:12], v8, s[2:3] offset:40
	global_load_b128 v[0:3], v8, s[2:3]
	s_waitcnt vmcnt(1)
	v_readfirstlane_b32 s6, v11
	v_readfirstlane_b32 s7, v12
	s_delay_alu instid0(VALU_DEP_1) | instskip(NEXT) | instid1(SALU_CYCLE_1)
	s_and_b64 s[6:7], s[4:5], s[6:7]
	s_mul_i32 s10, s7, 24
	s_mul_hi_u32 s11, s6, 24
	s_mul_i32 s12, s6, 24
	s_add_i32 s11, s11, s10
	s_waitcnt vmcnt(0)
	v_add_co_u32 v10, vcc_lo, v0, s12
	v_add_co_ci_u32_e32 v11, vcc_lo, s11, v1, vcc_lo
	s_and_saveexec_b32 s10, s0
	s_cbranch_execz .LBB1_123
; %bb.122:
	v_dual_mov_b32 v12, s1 :: v_dual_mov_b32 v13, v8
	v_dual_mov_b32 v14, 2 :: v_dual_mov_b32 v15, 1
	global_store_b128 v[10:11], v[12:15], off offset:8
.LBB1_123:
	s_or_b32 exec_lo, exec_lo, s10
	s_lshl_b64 s[6:7], s[6:7], 12
	s_mov_b32 s12, 0
	v_add_co_u32 v2, vcc_lo, v2, s6
	v_add_co_ci_u32_e32 v3, vcc_lo, s7, v3, vcc_lo
	s_mov_b32 s15, s12
	s_delay_alu instid0(VALU_DEP_2)
	v_add_co_u32 v12, vcc_lo, v2, v34
	s_mov_b32 s13, s12
	s_mov_b32 s14, s12
	v_and_or_b32 v6, 0xffffff1f, v6, 32
	v_mov_b32_e32 v9, v8
	v_readfirstlane_b32 s6, v2
	v_readfirstlane_b32 s7, v3
	v_dual_mov_b32 v17, s15 :: v_dual_mov_b32 v14, s12
	v_add_co_ci_u32_e32 v13, vcc_lo, 0, v3, vcc_lo
	v_dual_mov_b32 v16, s14 :: v_dual_mov_b32 v15, s13
	s_clause 0x3
	global_store_b128 v34, v[6:9], s[6:7]
	global_store_b128 v34, v[14:17], s[6:7] offset:16
	global_store_b128 v34, v[14:17], s[6:7] offset:32
	;; [unrolled: 1-line block ×3, first 2 shown]
	s_and_saveexec_b32 s1, s0
	s_cbranch_execz .LBB1_131
; %bb.124:
	v_dual_mov_b32 v8, 0 :: v_dual_mov_b32 v15, s5
	v_mov_b32_e32 v14, s4
	s_clause 0x1
	global_load_b64 v[16:17], v8, s[2:3] offset:32 glc
	global_load_b64 v[2:3], v8, s[2:3] offset:40
	s_waitcnt vmcnt(0)
	v_readfirstlane_b32 s6, v2
	v_readfirstlane_b32 s7, v3
	s_delay_alu instid0(VALU_DEP_1) | instskip(NEXT) | instid1(SALU_CYCLE_1)
	s_and_b64 s[6:7], s[6:7], s[4:5]
	s_mul_i32 s7, s7, 24
	s_mul_hi_u32 s10, s6, 24
	s_mul_i32 s6, s6, 24
	s_add_i32 s10, s10, s7
	v_add_co_u32 v6, vcc_lo, v0, s6
	v_add_co_ci_u32_e32 v7, vcc_lo, s10, v1, vcc_lo
	s_mov_b32 s6, exec_lo
	global_store_b64 v[6:7], v[16:17], off
	s_waitcnt_vscnt null, 0x0
	global_atomic_cmpswap_b64 v[2:3], v8, v[14:17], s[2:3] offset:32 glc
	s_waitcnt vmcnt(0)
	v_cmpx_ne_u64_e64 v[2:3], v[16:17]
	s_cbranch_execz .LBB1_127
; %bb.125:
	s_mov_b32 s7, 0
.LBB1_126:                              ; =>This Inner Loop Header: Depth=1
	v_dual_mov_b32 v0, s4 :: v_dual_mov_b32 v1, s5
	s_sleep 1
	global_store_b64 v[6:7], v[2:3], off
	s_waitcnt_vscnt null, 0x0
	global_atomic_cmpswap_b64 v[0:1], v8, v[0:3], s[2:3] offset:32 glc
	s_waitcnt vmcnt(0)
	v_cmp_eq_u64_e32 vcc_lo, v[0:1], v[2:3]
	v_dual_mov_b32 v3, v1 :: v_dual_mov_b32 v2, v0
	s_or_b32 s7, vcc_lo, s7
	s_delay_alu instid0(SALU_CYCLE_1)
	s_and_not1_b32 exec_lo, exec_lo, s7
	s_cbranch_execnz .LBB1_126
.LBB1_127:
	s_or_b32 exec_lo, exec_lo, s6
	v_mov_b32_e32 v3, 0
	s_mov_b32 s7, exec_lo
	s_mov_b32 s6, exec_lo
	v_mbcnt_lo_u32_b32 v2, s7, 0
	global_load_b64 v[0:1], v3, s[2:3] offset:16
	v_cmpx_eq_u32_e32 0, v2
	s_cbranch_execz .LBB1_129
; %bb.128:
	s_bcnt1_i32_b32 s7, s7
	s_delay_alu instid0(SALU_CYCLE_1)
	v_mov_b32_e32 v2, s7
	s_waitcnt vmcnt(0)
	global_atomic_add_u64 v[0:1], v[2:3], off offset:8
.LBB1_129:
	s_or_b32 exec_lo, exec_lo, s6
	s_waitcnt vmcnt(0)
	global_load_b64 v[2:3], v[0:1], off offset:16
	s_waitcnt vmcnt(0)
	v_cmp_eq_u64_e32 vcc_lo, 0, v[2:3]
	s_cbranch_vccnz .LBB1_131
; %bb.130:
	global_load_b32 v0, v[0:1], off offset:24
	s_waitcnt vmcnt(0)
	v_dual_mov_b32 v1, 0 :: v_dual_and_b32 v6, 0xffffff, v0
	s_waitcnt_vscnt null, 0x0
	global_store_b64 v[2:3], v[0:1], off
	v_readfirstlane_b32 m0, v6
	s_sendmsg sendmsg(MSG_INTERRUPT)
.LBB1_131:
	s_or_b32 exec_lo, exec_lo, s1
	s_branch .LBB1_135
	.p2align	6
.LBB1_132:                              ;   in Loop: Header=BB1_135 Depth=1
	s_or_b32 exec_lo, exec_lo, s1
	s_delay_alu instid0(VALU_DEP_1) | instskip(NEXT) | instid1(VALU_DEP_1)
	v_readfirstlane_b32 s1, v0
	s_cmp_eq_u32 s1, 0
	s_cbranch_scc1 .LBB1_134
; %bb.133:                              ;   in Loop: Header=BB1_135 Depth=1
	s_sleep 1
	s_cbranch_execnz .LBB1_135
	s_branch .LBB1_137
	.p2align	6
.LBB1_134:
	s_branch .LBB1_137
.LBB1_135:                              ; =>This Inner Loop Header: Depth=1
	v_mov_b32_e32 v0, 1
	s_and_saveexec_b32 s1, s0
	s_cbranch_execz .LBB1_132
; %bb.136:                              ;   in Loop: Header=BB1_135 Depth=1
	global_load_b32 v0, v[10:11], off offset:20 glc
	s_waitcnt vmcnt(0)
	buffer_gl1_inv
	buffer_gl0_inv
	v_and_b32_e32 v0, 1, v0
	s_branch .LBB1_132
.LBB1_137:
	global_load_b64 v[0:1], v[12:13], off
	s_and_saveexec_b32 s1, s0
	s_cbranch_execz .LBB1_141
; %bb.138:
	v_mov_b32_e32 v10, 0
	s_clause 0x2
	global_load_b64 v[2:3], v10, s[2:3] offset:40
	global_load_b64 v[11:12], v10, s[2:3] offset:24 glc
	global_load_b64 v[8:9], v10, s[2:3]
	s_waitcnt vmcnt(2)
	v_add_co_u32 v13, vcc_lo, v2, 1
	v_add_co_ci_u32_e32 v14, vcc_lo, 0, v3, vcc_lo
	s_delay_alu instid0(VALU_DEP_2) | instskip(NEXT) | instid1(VALU_DEP_2)
	v_add_co_u32 v6, vcc_lo, v13, s4
	v_add_co_ci_u32_e32 v7, vcc_lo, s5, v14, vcc_lo
	s_delay_alu instid0(VALU_DEP_1) | instskip(SKIP_1) | instid1(VALU_DEP_1)
	v_cmp_eq_u64_e32 vcc_lo, 0, v[6:7]
	v_dual_cndmask_b32 v7, v7, v14 :: v_dual_cndmask_b32 v6, v6, v13
	v_and_b32_e32 v3, v7, v3
	s_delay_alu instid0(VALU_DEP_2) | instskip(NEXT) | instid1(VALU_DEP_2)
	v_and_b32_e32 v2, v6, v2
	v_mul_lo_u32 v3, v3, 24
	s_delay_alu instid0(VALU_DEP_2) | instskip(SKIP_1) | instid1(VALU_DEP_2)
	v_mul_hi_u32 v13, v2, 24
	v_mul_lo_u32 v2, v2, 24
	v_add_nc_u32_e32 v3, v13, v3
	s_waitcnt vmcnt(0)
	s_delay_alu instid0(VALU_DEP_2) | instskip(SKIP_1) | instid1(VALU_DEP_3)
	v_add_co_u32 v2, vcc_lo, v8, v2
	v_mov_b32_e32 v8, v11
	v_add_co_ci_u32_e32 v3, vcc_lo, v9, v3, vcc_lo
	v_mov_b32_e32 v9, v12
	global_store_b64 v[2:3], v[11:12], off
	s_waitcnt_vscnt null, 0x0
	global_atomic_cmpswap_b64 v[8:9], v10, v[6:9], s[2:3] offset:24 glc
	s_waitcnt vmcnt(0)
	v_cmp_ne_u64_e32 vcc_lo, v[8:9], v[11:12]
	s_and_b32 exec_lo, exec_lo, vcc_lo
	s_cbranch_execz .LBB1_141
; %bb.139:
	s_mov_b32 s0, 0
.LBB1_140:                              ; =>This Inner Loop Header: Depth=1
	s_sleep 1
	global_store_b64 v[2:3], v[8:9], off
	s_waitcnt_vscnt null, 0x0
	global_atomic_cmpswap_b64 v[11:12], v10, v[6:9], s[2:3] offset:24 glc
	s_waitcnt vmcnt(0)
	v_cmp_eq_u64_e32 vcc_lo, v[11:12], v[8:9]
	v_dual_mov_b32 v8, v11 :: v_dual_mov_b32 v9, v12
	s_or_b32 s0, vcc_lo, s0
	s_delay_alu instid0(SALU_CYCLE_1)
	s_and_not1_b32 exec_lo, exec_lo, s0
	s_cbranch_execnz .LBB1_140
.LBB1_141:
	s_or_b32 exec_lo, exec_lo, s1
.LBB1_142:
	s_getpc_b64 s[4:5]
	s_add_u32 s4, s4, .str.2@rel32@lo+4
	s_addc_u32 s5, s5, .str.2@rel32@hi+12
	s_delay_alu instid0(SALU_CYCLE_1)
	s_cmp_lg_u64 s[4:5], 0
	s_cbranch_scc0 .LBB1_220
; %bb.143:
	s_getpc_b64 s[0:1]
	s_add_u32 s0, s0, .str.2@rel32@lo+80
	s_addc_u32 s1, s1, .str.2@rel32@hi+88
	s_waitcnt vmcnt(0)
	v_dual_mov_b32 v10, 0 :: v_dual_and_b32 v33, 2, v0
	v_dual_mov_b32 v7, v1 :: v_dual_and_b32 v6, -3, v0
	v_dual_mov_b32 v11, 2 :: v_dual_mov_b32 v12, 1
	s_sub_i32 s6, s0, s4
	s_delay_alu instid0(SALU_CYCLE_1)
	s_ashr_i32 s7, s6, 31
	s_branch .LBB1_145
.LBB1_144:                              ;   in Loop: Header=BB1_145 Depth=1
	s_or_b32 exec_lo, exec_lo, s1
	s_sub_u32 s6, s6, s10
	s_subb_u32 s7, s7, s11
	s_add_u32 s4, s4, s10
	s_addc_u32 s5, s5, s11
	s_cmp_lg_u64 s[6:7], 0
	s_cbranch_scc0 .LBB1_221
.LBB1_145:                              ; =>This Loop Header: Depth=1
                                        ;     Child Loop BB1_154 Depth 2
                                        ;     Child Loop BB1_150 Depth 2
                                        ;     Child Loop BB1_162 Depth 2
                                        ;     Child Loop BB1_169 Depth 2
                                        ;     Child Loop BB1_176 Depth 2
                                        ;     Child Loop BB1_183 Depth 2
                                        ;     Child Loop BB1_190 Depth 2
                                        ;     Child Loop BB1_197 Depth 2
                                        ;     Child Loop BB1_205 Depth 2
                                        ;     Child Loop BB1_214 Depth 2
                                        ;     Child Loop BB1_219 Depth 2
	v_cmp_lt_u64_e64 s0, s[6:7], 56
	v_cmp_gt_u64_e64 s1, s[6:7], 7
                                        ; implicit-def: $vgpr15_vgpr16
                                        ; implicit-def: $sgpr16
	s_delay_alu instid0(VALU_DEP_2) | instskip(SKIP_2) | instid1(VALU_DEP_1)
	s_and_b32 s0, s0, exec_lo
	s_cselect_b32 s11, s7, 0
	s_cselect_b32 s10, s6, 56
	s_and_b32 vcc_lo, exec_lo, s1
	s_mov_b32 s0, -1
	s_cbranch_vccz .LBB1_152
; %bb.146:                              ;   in Loop: Header=BB1_145 Depth=1
	s_and_not1_b32 vcc_lo, exec_lo, s0
	s_mov_b64 s[0:1], s[4:5]
	s_cbranch_vccz .LBB1_156
.LBB1_147:                              ;   in Loop: Header=BB1_145 Depth=1
	s_cmp_gt_u32 s16, 7
	s_cbranch_scc1 .LBB1_157
.LBB1_148:                              ;   in Loop: Header=BB1_145 Depth=1
	v_mov_b32_e32 v17, 0
	v_mov_b32_e32 v18, 0
	s_cmp_eq_u32 s16, 0
	s_cbranch_scc1 .LBB1_151
; %bb.149:                              ;   in Loop: Header=BB1_145 Depth=1
	s_mov_b64 s[12:13], 0
	s_mov_b64 s[14:15], 0
.LBB1_150:                              ;   Parent Loop BB1_145 Depth=1
                                        ; =>  This Inner Loop Header: Depth=2
	s_delay_alu instid0(SALU_CYCLE_1)
	s_add_u32 s18, s0, s14
	s_addc_u32 s19, s1, s15
	s_add_u32 s14, s14, 1
	global_load_u8 v2, v10, s[18:19]
	s_addc_u32 s15, s15, 0
	s_waitcnt vmcnt(0)
	v_and_b32_e32 v9, 0xffff, v2
	s_delay_alu instid0(VALU_DEP_1) | instskip(SKIP_3) | instid1(VALU_DEP_1)
	v_lshlrev_b64 v[2:3], s12, v[9:10]
	s_add_u32 s12, s12, 8
	s_addc_u32 s13, s13, 0
	s_cmp_lg_u32 s16, s14
	v_or_b32_e32 v17, v2, v17
	s_delay_alu instid0(VALU_DEP_2)
	v_or_b32_e32 v18, v3, v18
	s_cbranch_scc1 .LBB1_150
.LBB1_151:                              ;   in Loop: Header=BB1_145 Depth=1
	s_mov_b32 s17, 0
	s_cbranch_execz .LBB1_158
	s_branch .LBB1_159
.LBB1_152:                              ;   in Loop: Header=BB1_145 Depth=1
	v_mov_b32_e32 v15, 0
	v_mov_b32_e32 v16, 0
	s_cmp_eq_u64 s[6:7], 0
	s_mov_b64 s[0:1], 0
	s_cbranch_scc1 .LBB1_155
; %bb.153:                              ;   in Loop: Header=BB1_145 Depth=1
	v_mov_b32_e32 v15, 0
	v_mov_b32_e32 v16, 0
	s_lshl_b64 s[12:13], s[10:11], 3
	s_mov_b64 s[14:15], s[4:5]
.LBB1_154:                              ;   Parent Loop BB1_145 Depth=1
                                        ; =>  This Inner Loop Header: Depth=2
	global_load_u8 v2, v10, s[14:15]
	s_waitcnt vmcnt(0)
	v_and_b32_e32 v9, 0xffff, v2
	s_delay_alu instid0(VALU_DEP_1)
	v_lshlrev_b64 v[2:3], s0, v[9:10]
	s_add_u32 s0, s0, 8
	s_addc_u32 s1, s1, 0
	s_add_u32 s14, s14, 1
	s_addc_u32 s15, s15, 0
	s_cmp_lg_u32 s12, s0
	v_or_b32_e32 v15, v2, v15
	v_or_b32_e32 v16, v3, v16
	s_cbranch_scc1 .LBB1_154
.LBB1_155:                              ;   in Loop: Header=BB1_145 Depth=1
	s_mov_b32 s16, 0
	s_mov_b64 s[0:1], s[4:5]
	s_cbranch_execnz .LBB1_147
.LBB1_156:                              ;   in Loop: Header=BB1_145 Depth=1
	global_load_b64 v[15:16], v10, s[4:5]
	s_add_i32 s16, s10, -8
	s_add_u32 s0, s4, 8
	s_addc_u32 s1, s5, 0
	s_cmp_gt_u32 s16, 7
	s_cbranch_scc0 .LBB1_148
.LBB1_157:                              ;   in Loop: Header=BB1_145 Depth=1
                                        ; implicit-def: $vgpr17_vgpr18
                                        ; implicit-def: $sgpr17
.LBB1_158:                              ;   in Loop: Header=BB1_145 Depth=1
	global_load_b64 v[17:18], v10, s[0:1]
	s_add_i32 s17, s16, -8
	s_add_u32 s0, s0, 8
	s_addc_u32 s1, s1, 0
.LBB1_159:                              ;   in Loop: Header=BB1_145 Depth=1
	s_cmp_gt_u32 s17, 7
	s_cbranch_scc1 .LBB1_164
; %bb.160:                              ;   in Loop: Header=BB1_145 Depth=1
	v_mov_b32_e32 v19, 0
	v_mov_b32_e32 v20, 0
	s_cmp_eq_u32 s17, 0
	s_cbranch_scc1 .LBB1_163
; %bb.161:                              ;   in Loop: Header=BB1_145 Depth=1
	s_mov_b64 s[12:13], 0
	s_mov_b64 s[14:15], 0
.LBB1_162:                              ;   Parent Loop BB1_145 Depth=1
                                        ; =>  This Inner Loop Header: Depth=2
	s_delay_alu instid0(SALU_CYCLE_1)
	s_add_u32 s18, s0, s14
	s_addc_u32 s19, s1, s15
	s_add_u32 s14, s14, 1
	global_load_u8 v2, v10, s[18:19]
	s_addc_u32 s15, s15, 0
	s_waitcnt vmcnt(0)
	v_and_b32_e32 v9, 0xffff, v2
	s_delay_alu instid0(VALU_DEP_1) | instskip(SKIP_3) | instid1(VALU_DEP_1)
	v_lshlrev_b64 v[2:3], s12, v[9:10]
	s_add_u32 s12, s12, 8
	s_addc_u32 s13, s13, 0
	s_cmp_lg_u32 s17, s14
	v_or_b32_e32 v19, v2, v19
	s_delay_alu instid0(VALU_DEP_2)
	v_or_b32_e32 v20, v3, v20
	s_cbranch_scc1 .LBB1_162
.LBB1_163:                              ;   in Loop: Header=BB1_145 Depth=1
	s_mov_b32 s16, 0
	s_cbranch_execz .LBB1_165
	s_branch .LBB1_166
.LBB1_164:                              ;   in Loop: Header=BB1_145 Depth=1
                                        ; implicit-def: $sgpr16
.LBB1_165:                              ;   in Loop: Header=BB1_145 Depth=1
	global_load_b64 v[19:20], v10, s[0:1]
	s_add_i32 s16, s17, -8
	s_add_u32 s0, s0, 8
	s_addc_u32 s1, s1, 0
.LBB1_166:                              ;   in Loop: Header=BB1_145 Depth=1
	s_cmp_gt_u32 s16, 7
	s_cbranch_scc1 .LBB1_171
; %bb.167:                              ;   in Loop: Header=BB1_145 Depth=1
	v_mov_b32_e32 v21, 0
	v_mov_b32_e32 v22, 0
	s_cmp_eq_u32 s16, 0
	s_cbranch_scc1 .LBB1_170
; %bb.168:                              ;   in Loop: Header=BB1_145 Depth=1
	s_mov_b64 s[12:13], 0
	s_mov_b64 s[14:15], 0
.LBB1_169:                              ;   Parent Loop BB1_145 Depth=1
                                        ; =>  This Inner Loop Header: Depth=2
	s_delay_alu instid0(SALU_CYCLE_1)
	s_add_u32 s18, s0, s14
	s_addc_u32 s19, s1, s15
	s_add_u32 s14, s14, 1
	global_load_u8 v2, v10, s[18:19]
	s_addc_u32 s15, s15, 0
	s_waitcnt vmcnt(0)
	v_and_b32_e32 v9, 0xffff, v2
	s_delay_alu instid0(VALU_DEP_1) | instskip(SKIP_3) | instid1(VALU_DEP_1)
	v_lshlrev_b64 v[2:3], s12, v[9:10]
	s_add_u32 s12, s12, 8
	s_addc_u32 s13, s13, 0
	s_cmp_lg_u32 s16, s14
	v_or_b32_e32 v21, v2, v21
	s_delay_alu instid0(VALU_DEP_2)
	v_or_b32_e32 v22, v3, v22
	s_cbranch_scc1 .LBB1_169
.LBB1_170:                              ;   in Loop: Header=BB1_145 Depth=1
	s_mov_b32 s17, 0
	s_cbranch_execz .LBB1_172
	s_branch .LBB1_173
.LBB1_171:                              ;   in Loop: Header=BB1_145 Depth=1
                                        ; implicit-def: $vgpr21_vgpr22
                                        ; implicit-def: $sgpr17
.LBB1_172:                              ;   in Loop: Header=BB1_145 Depth=1
	global_load_b64 v[21:22], v10, s[0:1]
	s_add_i32 s17, s16, -8
	s_add_u32 s0, s0, 8
	s_addc_u32 s1, s1, 0
.LBB1_173:                              ;   in Loop: Header=BB1_145 Depth=1
	s_cmp_gt_u32 s17, 7
	s_cbranch_scc1 .LBB1_178
; %bb.174:                              ;   in Loop: Header=BB1_145 Depth=1
	v_mov_b32_e32 v23, 0
	v_mov_b32_e32 v24, 0
	s_cmp_eq_u32 s17, 0
	s_cbranch_scc1 .LBB1_177
; %bb.175:                              ;   in Loop: Header=BB1_145 Depth=1
	s_mov_b64 s[12:13], 0
	s_mov_b64 s[14:15], 0
.LBB1_176:                              ;   Parent Loop BB1_145 Depth=1
                                        ; =>  This Inner Loop Header: Depth=2
	s_delay_alu instid0(SALU_CYCLE_1)
	s_add_u32 s18, s0, s14
	s_addc_u32 s19, s1, s15
	s_add_u32 s14, s14, 1
	global_load_u8 v2, v10, s[18:19]
	s_addc_u32 s15, s15, 0
	s_waitcnt vmcnt(0)
	v_and_b32_e32 v9, 0xffff, v2
	s_delay_alu instid0(VALU_DEP_1) | instskip(SKIP_3) | instid1(VALU_DEP_1)
	v_lshlrev_b64 v[2:3], s12, v[9:10]
	s_add_u32 s12, s12, 8
	s_addc_u32 s13, s13, 0
	s_cmp_lg_u32 s17, s14
	v_or_b32_e32 v23, v2, v23
	s_delay_alu instid0(VALU_DEP_2)
	v_or_b32_e32 v24, v3, v24
	s_cbranch_scc1 .LBB1_176
.LBB1_177:                              ;   in Loop: Header=BB1_145 Depth=1
	s_mov_b32 s16, 0
	s_cbranch_execz .LBB1_179
	s_branch .LBB1_180
.LBB1_178:                              ;   in Loop: Header=BB1_145 Depth=1
                                        ; implicit-def: $sgpr16
.LBB1_179:                              ;   in Loop: Header=BB1_145 Depth=1
	global_load_b64 v[23:24], v10, s[0:1]
	s_add_i32 s16, s17, -8
	s_add_u32 s0, s0, 8
	s_addc_u32 s1, s1, 0
.LBB1_180:                              ;   in Loop: Header=BB1_145 Depth=1
	s_cmp_gt_u32 s16, 7
	s_cbranch_scc1 .LBB1_185
; %bb.181:                              ;   in Loop: Header=BB1_145 Depth=1
	v_mov_b32_e32 v25, 0
	v_mov_b32_e32 v26, 0
	s_cmp_eq_u32 s16, 0
	s_cbranch_scc1 .LBB1_184
; %bb.182:                              ;   in Loop: Header=BB1_145 Depth=1
	s_mov_b64 s[12:13], 0
	s_mov_b64 s[14:15], 0
.LBB1_183:                              ;   Parent Loop BB1_145 Depth=1
                                        ; =>  This Inner Loop Header: Depth=2
	s_delay_alu instid0(SALU_CYCLE_1)
	s_add_u32 s18, s0, s14
	s_addc_u32 s19, s1, s15
	s_add_u32 s14, s14, 1
	global_load_u8 v2, v10, s[18:19]
	s_addc_u32 s15, s15, 0
	s_waitcnt vmcnt(0)
	v_and_b32_e32 v9, 0xffff, v2
	s_delay_alu instid0(VALU_DEP_1) | instskip(SKIP_3) | instid1(VALU_DEP_1)
	v_lshlrev_b64 v[2:3], s12, v[9:10]
	s_add_u32 s12, s12, 8
	s_addc_u32 s13, s13, 0
	s_cmp_lg_u32 s16, s14
	v_or_b32_e32 v25, v2, v25
	s_delay_alu instid0(VALU_DEP_2)
	v_or_b32_e32 v26, v3, v26
	s_cbranch_scc1 .LBB1_183
.LBB1_184:                              ;   in Loop: Header=BB1_145 Depth=1
	s_mov_b32 s17, 0
	s_cbranch_execz .LBB1_186
	s_branch .LBB1_187
.LBB1_185:                              ;   in Loop: Header=BB1_145 Depth=1
                                        ; implicit-def: $vgpr25_vgpr26
                                        ; implicit-def: $sgpr17
.LBB1_186:                              ;   in Loop: Header=BB1_145 Depth=1
	global_load_b64 v[25:26], v10, s[0:1]
	s_add_i32 s17, s16, -8
	s_add_u32 s0, s0, 8
	s_addc_u32 s1, s1, 0
.LBB1_187:                              ;   in Loop: Header=BB1_145 Depth=1
	s_cmp_gt_u32 s17, 7
	s_cbranch_scc1 .LBB1_192
; %bb.188:                              ;   in Loop: Header=BB1_145 Depth=1
	v_mov_b32_e32 v27, 0
	v_mov_b32_e32 v28, 0
	s_cmp_eq_u32 s17, 0
	s_cbranch_scc1 .LBB1_191
; %bb.189:                              ;   in Loop: Header=BB1_145 Depth=1
	s_mov_b64 s[12:13], 0
	s_mov_b64 s[14:15], s[0:1]
.LBB1_190:                              ;   Parent Loop BB1_145 Depth=1
                                        ; =>  This Inner Loop Header: Depth=2
	global_load_u8 v2, v10, s[14:15]
	s_add_i32 s17, s17, -1
	s_waitcnt vmcnt(0)
	v_and_b32_e32 v9, 0xffff, v2
	s_delay_alu instid0(VALU_DEP_1)
	v_lshlrev_b64 v[2:3], s12, v[9:10]
	s_add_u32 s12, s12, 8
	s_addc_u32 s13, s13, 0
	s_add_u32 s14, s14, 1
	s_addc_u32 s15, s15, 0
	s_cmp_lg_u32 s17, 0
	v_or_b32_e32 v27, v2, v27
	v_or_b32_e32 v28, v3, v28
	s_cbranch_scc1 .LBB1_190
.LBB1_191:                              ;   in Loop: Header=BB1_145 Depth=1
	s_cbranch_execz .LBB1_193
	s_branch .LBB1_194
.LBB1_192:                              ;   in Loop: Header=BB1_145 Depth=1
.LBB1_193:                              ;   in Loop: Header=BB1_145 Depth=1
	global_load_b64 v[27:28], v10, s[0:1]
.LBB1_194:                              ;   in Loop: Header=BB1_145 Depth=1
	v_readfirstlane_b32 s0, v35
	v_mov_b32_e32 v2, 0
	v_mov_b32_e32 v3, 0
	s_delay_alu instid0(VALU_DEP_3) | instskip(NEXT) | instid1(VALU_DEP_1)
	v_cmp_eq_u32_e64 s0, s0, v35
	s_and_saveexec_b32 s1, s0
	s_cbranch_execz .LBB1_200
; %bb.195:                              ;   in Loop: Header=BB1_145 Depth=1
	global_load_b64 v[31:32], v10, s[2:3] offset:24 glc
	s_waitcnt vmcnt(0)
	buffer_gl1_inv
	buffer_gl0_inv
	s_clause 0x1
	global_load_b64 v[2:3], v10, s[2:3] offset:40
	global_load_b64 v[8:9], v10, s[2:3]
	s_mov_b32 s12, exec_lo
	s_waitcnt vmcnt(1)
	v_and_b32_e32 v3, v3, v32
	v_and_b32_e32 v2, v2, v31
	s_delay_alu instid0(VALU_DEP_2) | instskip(NEXT) | instid1(VALU_DEP_2)
	v_mul_lo_u32 v3, v3, 24
	v_mul_hi_u32 v13, v2, 24
	v_mul_lo_u32 v2, v2, 24
	s_delay_alu instid0(VALU_DEP_2) | instskip(SKIP_1) | instid1(VALU_DEP_2)
	v_add_nc_u32_e32 v3, v13, v3
	s_waitcnt vmcnt(0)
	v_add_co_u32 v2, vcc_lo, v8, v2
	s_delay_alu instid0(VALU_DEP_2)
	v_add_co_ci_u32_e32 v3, vcc_lo, v9, v3, vcc_lo
	global_load_b64 v[29:30], v[2:3], off glc
	s_waitcnt vmcnt(0)
	global_atomic_cmpswap_b64 v[2:3], v10, v[29:32], s[2:3] offset:24 glc
	s_waitcnt vmcnt(0)
	buffer_gl1_inv
	buffer_gl0_inv
	v_cmpx_ne_u64_e64 v[2:3], v[31:32]
	s_cbranch_execz .LBB1_199
; %bb.196:                              ;   in Loop: Header=BB1_145 Depth=1
	s_mov_b32 s13, 0
	.p2align	6
.LBB1_197:                              ;   Parent Loop BB1_145 Depth=1
                                        ; =>  This Inner Loop Header: Depth=2
	s_sleep 1
	s_clause 0x1
	global_load_b64 v[8:9], v10, s[2:3] offset:40
	global_load_b64 v[13:14], v10, s[2:3]
	v_dual_mov_b32 v32, v3 :: v_dual_mov_b32 v31, v2
	s_waitcnt vmcnt(1)
	s_delay_alu instid0(VALU_DEP_1) | instskip(SKIP_1) | instid1(VALU_DEP_1)
	v_and_b32_e32 v8, v8, v31
	s_waitcnt vmcnt(0)
	v_mad_u64_u32 v[2:3], null, v8, 24, v[13:14]
	v_and_b32_e32 v13, v9, v32
	s_delay_alu instid0(VALU_DEP_1) | instskip(NEXT) | instid1(VALU_DEP_1)
	v_mad_u64_u32 v[8:9], null, v13, 24, v[3:4]
	v_mov_b32_e32 v3, v8
	global_load_b64 v[29:30], v[2:3], off glc
	s_waitcnt vmcnt(0)
	global_atomic_cmpswap_b64 v[2:3], v10, v[29:32], s[2:3] offset:24 glc
	s_waitcnt vmcnt(0)
	buffer_gl1_inv
	buffer_gl0_inv
	v_cmp_eq_u64_e32 vcc_lo, v[2:3], v[31:32]
	s_or_b32 s13, vcc_lo, s13
	s_delay_alu instid0(SALU_CYCLE_1)
	s_and_not1_b32 exec_lo, exec_lo, s13
	s_cbranch_execnz .LBB1_197
; %bb.198:                              ;   in Loop: Header=BB1_145 Depth=1
	s_or_b32 exec_lo, exec_lo, s13
.LBB1_199:                              ;   in Loop: Header=BB1_145 Depth=1
	s_delay_alu instid0(SALU_CYCLE_1)
	s_or_b32 exec_lo, exec_lo, s12
.LBB1_200:                              ;   in Loop: Header=BB1_145 Depth=1
	s_delay_alu instid0(SALU_CYCLE_1)
	s_or_b32 exec_lo, exec_lo, s1
	s_clause 0x1
	global_load_b64 v[8:9], v10, s[2:3] offset:40
	global_load_b128 v[29:32], v10, s[2:3]
	v_readfirstlane_b32 s12, v2
	v_readfirstlane_b32 s13, v3
	s_mov_b32 s1, exec_lo
	s_waitcnt vmcnt(1)
	v_readfirstlane_b32 s14, v8
	v_readfirstlane_b32 s15, v9
	s_delay_alu instid0(VALU_DEP_1) | instskip(NEXT) | instid1(SALU_CYCLE_1)
	s_and_b64 s[14:15], s[12:13], s[14:15]
	s_mul_i32 s16, s15, 24
	s_mul_hi_u32 s17, s14, 24
	s_mul_i32 s18, s14, 24
	s_add_i32 s17, s17, s16
	s_waitcnt vmcnt(0)
	v_add_co_u32 v2, vcc_lo, v29, s18
	v_add_co_ci_u32_e32 v3, vcc_lo, s17, v30, vcc_lo
	s_and_saveexec_b32 s16, s0
	s_cbranch_execz .LBB1_202
; %bb.201:                              ;   in Loop: Header=BB1_145 Depth=1
	v_mov_b32_e32 v9, s1
	global_store_b128 v[2:3], v[9:12], off offset:8
.LBB1_202:                              ;   in Loop: Header=BB1_145 Depth=1
	s_or_b32 exec_lo, exec_lo, s16
	s_lshl_b64 s[14:15], s[14:15], 12
	v_cmp_gt_u64_e64 vcc_lo, s[6:7], 56
	v_or_b32_e32 v9, v6, v33
	v_add_co_u32 v31, s1, v31, s14
	s_delay_alu instid0(VALU_DEP_1)
	v_add_co_ci_u32_e64 v32, s1, s15, v32, s1
	s_lshl_b32 s1, s10, 2
	v_or_b32_e32 v8, 0, v7
	v_cndmask_b32_e32 v6, v9, v6, vcc_lo
	s_add_i32 s1, s1, 28
	v_readfirstlane_b32 s14, v31
	s_and_b32 s1, s1, 0x1e0
	v_cndmask_b32_e32 v14, v8, v7, vcc_lo
	v_readfirstlane_b32 s15, v32
	v_and_or_b32 v13, 0xffffff1f, v6, s1
	s_clause 0x3
	global_store_b128 v34, v[13:16], s[14:15]
	global_store_b128 v34, v[17:20], s[14:15] offset:16
	global_store_b128 v34, v[21:24], s[14:15] offset:32
	;; [unrolled: 1-line block ×3, first 2 shown]
	s_and_saveexec_b32 s1, s0
	s_cbranch_execz .LBB1_210
; %bb.203:                              ;   in Loop: Header=BB1_145 Depth=1
	s_clause 0x1
	global_load_b64 v[17:18], v10, s[2:3] offset:32 glc
	global_load_b64 v[6:7], v10, s[2:3] offset:40
	v_dual_mov_b32 v15, s12 :: v_dual_mov_b32 v16, s13
	s_waitcnt vmcnt(0)
	v_readfirstlane_b32 s14, v6
	v_readfirstlane_b32 s15, v7
	s_delay_alu instid0(VALU_DEP_1) | instskip(NEXT) | instid1(SALU_CYCLE_1)
	s_and_b64 s[14:15], s[14:15], s[12:13]
	s_mul_i32 s15, s15, 24
	s_mul_hi_u32 s16, s14, 24
	s_mul_i32 s14, s14, 24
	s_add_i32 s16, s16, s15
	v_add_co_u32 v13, vcc_lo, v29, s14
	v_add_co_ci_u32_e32 v14, vcc_lo, s16, v30, vcc_lo
	s_mov_b32 s14, exec_lo
	global_store_b64 v[13:14], v[17:18], off
	s_waitcnt_vscnt null, 0x0
	global_atomic_cmpswap_b64 v[8:9], v10, v[15:18], s[2:3] offset:32 glc
	s_waitcnt vmcnt(0)
	v_cmpx_ne_u64_e64 v[8:9], v[17:18]
	s_cbranch_execz .LBB1_206
; %bb.204:                              ;   in Loop: Header=BB1_145 Depth=1
	s_mov_b32 s15, 0
.LBB1_205:                              ;   Parent Loop BB1_145 Depth=1
                                        ; =>  This Inner Loop Header: Depth=2
	v_dual_mov_b32 v6, s12 :: v_dual_mov_b32 v7, s13
	s_sleep 1
	global_store_b64 v[13:14], v[8:9], off
	s_waitcnt_vscnt null, 0x0
	global_atomic_cmpswap_b64 v[6:7], v10, v[6:9], s[2:3] offset:32 glc
	s_waitcnt vmcnt(0)
	v_cmp_eq_u64_e32 vcc_lo, v[6:7], v[8:9]
	v_dual_mov_b32 v9, v7 :: v_dual_mov_b32 v8, v6
	s_or_b32 s15, vcc_lo, s15
	s_delay_alu instid0(SALU_CYCLE_1)
	s_and_not1_b32 exec_lo, exec_lo, s15
	s_cbranch_execnz .LBB1_205
.LBB1_206:                              ;   in Loop: Header=BB1_145 Depth=1
	s_or_b32 exec_lo, exec_lo, s14
	global_load_b64 v[6:7], v10, s[2:3] offset:16
	s_mov_b32 s15, exec_lo
	s_mov_b32 s14, exec_lo
	v_mbcnt_lo_u32_b32 v8, s15, 0
	s_delay_alu instid0(VALU_DEP_1)
	v_cmpx_eq_u32_e32 0, v8
	s_cbranch_execz .LBB1_208
; %bb.207:                              ;   in Loop: Header=BB1_145 Depth=1
	s_bcnt1_i32_b32 s15, s15
	s_delay_alu instid0(SALU_CYCLE_1)
	v_mov_b32_e32 v9, s15
	s_waitcnt vmcnt(0)
	global_atomic_add_u64 v[6:7], v[9:10], off offset:8
.LBB1_208:                              ;   in Loop: Header=BB1_145 Depth=1
	s_or_b32 exec_lo, exec_lo, s14
	s_waitcnt vmcnt(0)
	global_load_b64 v[13:14], v[6:7], off offset:16
	s_waitcnt vmcnt(0)
	v_cmp_eq_u64_e32 vcc_lo, 0, v[13:14]
	s_cbranch_vccnz .LBB1_210
; %bb.209:                              ;   in Loop: Header=BB1_145 Depth=1
	global_load_b32 v9, v[6:7], off offset:24
	s_waitcnt vmcnt(0)
	v_and_b32_e32 v6, 0xffffff, v9
	s_waitcnt_vscnt null, 0x0
	global_store_b64 v[13:14], v[9:10], off
	v_readfirstlane_b32 m0, v6
	s_sendmsg sendmsg(MSG_INTERRUPT)
.LBB1_210:                              ;   in Loop: Header=BB1_145 Depth=1
	s_or_b32 exec_lo, exec_lo, s1
	v_add_co_u32 v6, vcc_lo, v31, v34
	v_add_co_ci_u32_e32 v7, vcc_lo, 0, v32, vcc_lo
	s_branch .LBB1_214
	.p2align	6
.LBB1_211:                              ;   in Loop: Header=BB1_214 Depth=2
	s_or_b32 exec_lo, exec_lo, s1
	s_delay_alu instid0(VALU_DEP_1) | instskip(NEXT) | instid1(VALU_DEP_1)
	v_readfirstlane_b32 s1, v8
	s_cmp_eq_u32 s1, 0
	s_cbranch_scc1 .LBB1_213
; %bb.212:                              ;   in Loop: Header=BB1_214 Depth=2
	s_sleep 1
	s_cbranch_execnz .LBB1_214
	s_branch .LBB1_216
	.p2align	6
.LBB1_213:                              ;   in Loop: Header=BB1_145 Depth=1
	s_branch .LBB1_216
.LBB1_214:                              ;   Parent Loop BB1_145 Depth=1
                                        ; =>  This Inner Loop Header: Depth=2
	v_mov_b32_e32 v8, 1
	s_and_saveexec_b32 s1, s0
	s_cbranch_execz .LBB1_211
; %bb.215:                              ;   in Loop: Header=BB1_214 Depth=2
	global_load_b32 v8, v[2:3], off offset:20 glc
	s_waitcnt vmcnt(0)
	buffer_gl1_inv
	buffer_gl0_inv
	v_and_b32_e32 v8, 1, v8
	s_branch .LBB1_211
.LBB1_216:                              ;   in Loop: Header=BB1_145 Depth=1
	global_load_b128 v[6:9], v[6:7], off
	s_and_saveexec_b32 s1, s0
	s_cbranch_execz .LBB1_144
; %bb.217:                              ;   in Loop: Header=BB1_145 Depth=1
	s_clause 0x2
	global_load_b64 v[2:3], v10, s[2:3] offset:40
	global_load_b64 v[8:9], v10, s[2:3] offset:24 glc
	global_load_b64 v[15:16], v10, s[2:3]
	s_waitcnt vmcnt(2)
	v_add_co_u32 v17, vcc_lo, v2, 1
	v_add_co_ci_u32_e32 v18, vcc_lo, 0, v3, vcc_lo
	s_delay_alu instid0(VALU_DEP_2) | instskip(NEXT) | instid1(VALU_DEP_2)
	v_add_co_u32 v13, vcc_lo, v17, s12
	v_add_co_ci_u32_e32 v14, vcc_lo, s13, v18, vcc_lo
	s_delay_alu instid0(VALU_DEP_1) | instskip(SKIP_1) | instid1(VALU_DEP_1)
	v_cmp_eq_u64_e32 vcc_lo, 0, v[13:14]
	v_dual_cndmask_b32 v14, v14, v18 :: v_dual_cndmask_b32 v13, v13, v17
	v_and_b32_e32 v3, v14, v3
	s_delay_alu instid0(VALU_DEP_2) | instskip(NEXT) | instid1(VALU_DEP_2)
	v_and_b32_e32 v2, v13, v2
	v_mul_lo_u32 v3, v3, 24
	s_delay_alu instid0(VALU_DEP_2) | instskip(SKIP_1) | instid1(VALU_DEP_2)
	v_mul_hi_u32 v17, v2, 24
	v_mul_lo_u32 v2, v2, 24
	v_add_nc_u32_e32 v3, v17, v3
	s_waitcnt vmcnt(0)
	s_delay_alu instid0(VALU_DEP_2) | instskip(SKIP_1) | instid1(VALU_DEP_3)
	v_add_co_u32 v2, vcc_lo, v15, v2
	v_mov_b32_e32 v15, v8
	v_add_co_ci_u32_e32 v3, vcc_lo, v16, v3, vcc_lo
	v_mov_b32_e32 v16, v9
	global_store_b64 v[2:3], v[8:9], off
	s_waitcnt_vscnt null, 0x0
	global_atomic_cmpswap_b64 v[15:16], v10, v[13:16], s[2:3] offset:24 glc
	s_waitcnt vmcnt(0)
	v_cmp_ne_u64_e32 vcc_lo, v[15:16], v[8:9]
	s_and_b32 exec_lo, exec_lo, vcc_lo
	s_cbranch_execz .LBB1_144
; %bb.218:                              ;   in Loop: Header=BB1_145 Depth=1
	s_mov_b32 s0, 0
.LBB1_219:                              ;   Parent Loop BB1_145 Depth=1
                                        ; =>  This Inner Loop Header: Depth=2
	s_sleep 1
	global_store_b64 v[2:3], v[15:16], off
	s_waitcnt_vscnt null, 0x0
	global_atomic_cmpswap_b64 v[8:9], v10, v[13:16], s[2:3] offset:24 glc
	s_waitcnt vmcnt(0)
	v_cmp_eq_u64_e32 vcc_lo, v[8:9], v[15:16]
	v_dual_mov_b32 v16, v9 :: v_dual_mov_b32 v15, v8
	s_or_b32 s0, vcc_lo, s0
	s_delay_alu instid0(SALU_CYCLE_1)
	s_and_not1_b32 exec_lo, exec_lo, s0
	s_cbranch_execnz .LBB1_219
	s_branch .LBB1_144
.LBB1_220:
                                        ; implicit-def: $vgpr6_vgpr7
	s_cbranch_execnz .LBB1_222
	s_branch .LBB1_249
.LBB1_221:
	s_branch .LBB1_249
.LBB1_222:
	v_readfirstlane_b32 s0, v35
	v_mov_b32_e32 v10, 0
	v_mov_b32_e32 v11, 0
	s_delay_alu instid0(VALU_DEP_3) | instskip(NEXT) | instid1(VALU_DEP_1)
	v_cmp_eq_u32_e64 s0, s0, v35
	s_and_saveexec_b32 s1, s0
	s_cbranch_execz .LBB1_228
; %bb.223:
	s_waitcnt vmcnt(0)
	v_mov_b32_e32 v2, 0
	s_mov_b32 s4, exec_lo
	global_load_b64 v[8:9], v2, s[2:3] offset:24 glc
	s_waitcnt vmcnt(0)
	buffer_gl1_inv
	buffer_gl0_inv
	s_clause 0x1
	global_load_b64 v[6:7], v2, s[2:3] offset:40
	global_load_b64 v[10:11], v2, s[2:3]
	s_waitcnt vmcnt(1)
	v_and_b32_e32 v3, v7, v9
	v_and_b32_e32 v6, v6, v8
	s_delay_alu instid0(VALU_DEP_2) | instskip(NEXT) | instid1(VALU_DEP_2)
	v_mul_lo_u32 v3, v3, 24
	v_mul_hi_u32 v7, v6, 24
	v_mul_lo_u32 v6, v6, 24
	s_delay_alu instid0(VALU_DEP_2) | instskip(SKIP_1) | instid1(VALU_DEP_2)
	v_add_nc_u32_e32 v3, v7, v3
	s_waitcnt vmcnt(0)
	v_add_co_u32 v6, vcc_lo, v10, v6
	s_delay_alu instid0(VALU_DEP_2)
	v_add_co_ci_u32_e32 v7, vcc_lo, v11, v3, vcc_lo
	global_load_b64 v[6:7], v[6:7], off glc
	s_waitcnt vmcnt(0)
	global_atomic_cmpswap_b64 v[10:11], v2, v[6:9], s[2:3] offset:24 glc
	s_waitcnt vmcnt(0)
	buffer_gl1_inv
	buffer_gl0_inv
	v_cmpx_ne_u64_e64 v[10:11], v[8:9]
	s_cbranch_execz .LBB1_227
; %bb.224:
	s_mov_b32 s5, 0
	.p2align	6
.LBB1_225:                              ; =>This Inner Loop Header: Depth=1
	s_sleep 1
	s_clause 0x1
	global_load_b64 v[6:7], v2, s[2:3] offset:40
	global_load_b64 v[12:13], v2, s[2:3]
	v_dual_mov_b32 v8, v10 :: v_dual_mov_b32 v9, v11
	s_waitcnt vmcnt(1)
	s_delay_alu instid0(VALU_DEP_1) | instskip(SKIP_1) | instid1(VALU_DEP_1)
	v_and_b32_e32 v3, v6, v8
	s_waitcnt vmcnt(0)
	v_mad_u64_u32 v[10:11], null, v3, 24, v[12:13]
	v_and_b32_e32 v12, v7, v9
	s_delay_alu instid0(VALU_DEP_2) | instskip(NEXT) | instid1(VALU_DEP_1)
	v_mov_b32_e32 v3, v11
	v_mad_u64_u32 v[6:7], null, v12, 24, v[3:4]
	s_delay_alu instid0(VALU_DEP_1)
	v_mov_b32_e32 v11, v6
	global_load_b64 v[6:7], v[10:11], off glc
	s_waitcnt vmcnt(0)
	global_atomic_cmpswap_b64 v[10:11], v2, v[6:9], s[2:3] offset:24 glc
	s_waitcnt vmcnt(0)
	buffer_gl1_inv
	buffer_gl0_inv
	v_cmp_eq_u64_e32 vcc_lo, v[10:11], v[8:9]
	s_or_b32 s5, vcc_lo, s5
	s_delay_alu instid0(SALU_CYCLE_1)
	s_and_not1_b32 exec_lo, exec_lo, s5
	s_cbranch_execnz .LBB1_225
; %bb.226:
	s_or_b32 exec_lo, exec_lo, s5
.LBB1_227:
	s_delay_alu instid0(SALU_CYCLE_1)
	s_or_b32 exec_lo, exec_lo, s4
.LBB1_228:
	s_delay_alu instid0(SALU_CYCLE_1)
	s_or_b32 exec_lo, exec_lo, s1
	s_waitcnt vmcnt(0)
	v_mov_b32_e32 v2, 0
	v_readfirstlane_b32 s4, v10
	v_readfirstlane_b32 s5, v11
	s_mov_b32 s1, exec_lo
	s_clause 0x1
	global_load_b64 v[12:13], v2, s[2:3] offset:40
	global_load_b128 v[6:9], v2, s[2:3]
	s_waitcnt vmcnt(1)
	v_readfirstlane_b32 s6, v12
	v_readfirstlane_b32 s7, v13
	s_delay_alu instid0(VALU_DEP_1) | instskip(NEXT) | instid1(SALU_CYCLE_1)
	s_and_b64 s[6:7], s[4:5], s[6:7]
	s_mul_i32 s10, s7, 24
	s_mul_hi_u32 s11, s6, 24
	s_mul_i32 s12, s6, 24
	s_add_i32 s11, s11, s10
	s_waitcnt vmcnt(0)
	v_add_co_u32 v10, vcc_lo, v6, s12
	v_add_co_ci_u32_e32 v11, vcc_lo, s11, v7, vcc_lo
	s_and_saveexec_b32 s10, s0
	s_cbranch_execz .LBB1_230
; %bb.229:
	v_dual_mov_b32 v12, s1 :: v_dual_mov_b32 v13, v2
	v_dual_mov_b32 v14, 2 :: v_dual_mov_b32 v15, 1
	global_store_b128 v[10:11], v[12:15], off offset:8
.LBB1_230:
	s_or_b32 exec_lo, exec_lo, s10
	s_lshl_b64 s[6:7], s[6:7], 12
	s_mov_b32 s12, 0
	v_add_co_u32 v8, vcc_lo, v8, s6
	v_add_co_ci_u32_e32 v9, vcc_lo, s7, v9, vcc_lo
	s_mov_b32 s13, s12
	s_delay_alu instid0(VALU_DEP_2)
	v_readfirstlane_b32 s6, v8
	v_add_co_u32 v8, vcc_lo, v8, v34
	s_mov_b32 s14, s12
	s_mov_b32 s15, s12
	v_and_or_b32 v0, 0xffffff1f, v0, 32
	v_dual_mov_b32 v3, v2 :: v_dual_mov_b32 v12, s12
	v_readfirstlane_b32 s7, v9
	v_add_co_ci_u32_e32 v9, vcc_lo, 0, v9, vcc_lo
	v_dual_mov_b32 v13, s13 :: v_dual_mov_b32 v14, s14
	v_mov_b32_e32 v15, s15
	s_clause 0x3
	global_store_b128 v34, v[0:3], s[6:7]
	global_store_b128 v34, v[12:15], s[6:7] offset:16
	global_store_b128 v34, v[12:15], s[6:7] offset:32
	;; [unrolled: 1-line block ×3, first 2 shown]
	s_and_saveexec_b32 s1, s0
	s_cbranch_execz .LBB1_238
; %bb.231:
	v_dual_mov_b32 v12, 0 :: v_dual_mov_b32 v13, s4
	v_mov_b32_e32 v14, s5
	s_clause 0x1
	global_load_b64 v[15:16], v12, s[2:3] offset:32 glc
	global_load_b64 v[0:1], v12, s[2:3] offset:40
	s_waitcnt vmcnt(0)
	v_readfirstlane_b32 s6, v0
	v_readfirstlane_b32 s7, v1
	s_delay_alu instid0(VALU_DEP_1) | instskip(NEXT) | instid1(SALU_CYCLE_1)
	s_and_b64 s[6:7], s[6:7], s[4:5]
	s_mul_i32 s7, s7, 24
	s_mul_hi_u32 s10, s6, 24
	s_mul_i32 s6, s6, 24
	s_add_i32 s10, s10, s7
	v_add_co_u32 v6, vcc_lo, v6, s6
	v_add_co_ci_u32_e32 v7, vcc_lo, s10, v7, vcc_lo
	s_mov_b32 s6, exec_lo
	global_store_b64 v[6:7], v[15:16], off
	s_waitcnt_vscnt null, 0x0
	global_atomic_cmpswap_b64 v[2:3], v12, v[13:16], s[2:3] offset:32 glc
	s_waitcnt vmcnt(0)
	v_cmpx_ne_u64_e64 v[2:3], v[15:16]
	s_cbranch_execz .LBB1_234
; %bb.232:
	s_mov_b32 s7, 0
.LBB1_233:                              ; =>This Inner Loop Header: Depth=1
	v_dual_mov_b32 v0, s4 :: v_dual_mov_b32 v1, s5
	s_sleep 1
	global_store_b64 v[6:7], v[2:3], off
	s_waitcnt_vscnt null, 0x0
	global_atomic_cmpswap_b64 v[0:1], v12, v[0:3], s[2:3] offset:32 glc
	s_waitcnt vmcnt(0)
	v_cmp_eq_u64_e32 vcc_lo, v[0:1], v[2:3]
	v_dual_mov_b32 v3, v1 :: v_dual_mov_b32 v2, v0
	s_or_b32 s7, vcc_lo, s7
	s_delay_alu instid0(SALU_CYCLE_1)
	s_and_not1_b32 exec_lo, exec_lo, s7
	s_cbranch_execnz .LBB1_233
.LBB1_234:
	s_or_b32 exec_lo, exec_lo, s6
	v_mov_b32_e32 v3, 0
	s_mov_b32 s7, exec_lo
	s_mov_b32 s6, exec_lo
	v_mbcnt_lo_u32_b32 v2, s7, 0
	global_load_b64 v[0:1], v3, s[2:3] offset:16
	v_cmpx_eq_u32_e32 0, v2
	s_cbranch_execz .LBB1_236
; %bb.235:
	s_bcnt1_i32_b32 s7, s7
	s_delay_alu instid0(SALU_CYCLE_1)
	v_mov_b32_e32 v2, s7
	s_waitcnt vmcnt(0)
	global_atomic_add_u64 v[0:1], v[2:3], off offset:8
.LBB1_236:
	s_or_b32 exec_lo, exec_lo, s6
	s_waitcnt vmcnt(0)
	global_load_b64 v[2:3], v[0:1], off offset:16
	s_waitcnt vmcnt(0)
	v_cmp_eq_u64_e32 vcc_lo, 0, v[2:3]
	s_cbranch_vccnz .LBB1_238
; %bb.237:
	global_load_b32 v0, v[0:1], off offset:24
	s_waitcnt vmcnt(0)
	v_dual_mov_b32 v1, 0 :: v_dual_and_b32 v6, 0xffffff, v0
	s_waitcnt_vscnt null, 0x0
	global_store_b64 v[2:3], v[0:1], off
	v_readfirstlane_b32 m0, v6
	s_sendmsg sendmsg(MSG_INTERRUPT)
.LBB1_238:
	s_or_b32 exec_lo, exec_lo, s1
	s_branch .LBB1_242
	.p2align	6
.LBB1_239:                              ;   in Loop: Header=BB1_242 Depth=1
	s_or_b32 exec_lo, exec_lo, s1
	s_delay_alu instid0(VALU_DEP_1) | instskip(NEXT) | instid1(VALU_DEP_1)
	v_readfirstlane_b32 s1, v0
	s_cmp_eq_u32 s1, 0
	s_cbranch_scc1 .LBB1_241
; %bb.240:                              ;   in Loop: Header=BB1_242 Depth=1
	s_sleep 1
	s_cbranch_execnz .LBB1_242
	s_branch .LBB1_244
	.p2align	6
.LBB1_241:
	s_branch .LBB1_244
.LBB1_242:                              ; =>This Inner Loop Header: Depth=1
	v_mov_b32_e32 v0, 1
	s_and_saveexec_b32 s1, s0
	s_cbranch_execz .LBB1_239
; %bb.243:                              ;   in Loop: Header=BB1_242 Depth=1
	global_load_b32 v0, v[10:11], off offset:20 glc
	s_waitcnt vmcnt(0)
	buffer_gl1_inv
	buffer_gl0_inv
	v_and_b32_e32 v0, 1, v0
	s_branch .LBB1_239
.LBB1_244:
	global_load_b64 v[6:7], v[8:9], off
	s_and_saveexec_b32 s1, s0
	s_cbranch_execz .LBB1_248
; %bb.245:
	v_mov_b32_e32 v10, 0
	s_clause 0x2
	global_load_b64 v[2:3], v10, s[2:3] offset:40
	global_load_b64 v[11:12], v10, s[2:3] offset:24 glc
	global_load_b64 v[8:9], v10, s[2:3]
	s_waitcnt vmcnt(2)
	v_add_co_u32 v13, vcc_lo, v2, 1
	v_add_co_ci_u32_e32 v14, vcc_lo, 0, v3, vcc_lo
	s_delay_alu instid0(VALU_DEP_2) | instskip(NEXT) | instid1(VALU_DEP_2)
	v_add_co_u32 v0, vcc_lo, v13, s4
	v_add_co_ci_u32_e32 v1, vcc_lo, s5, v14, vcc_lo
	s_delay_alu instid0(VALU_DEP_1) | instskip(SKIP_1) | instid1(VALU_DEP_1)
	v_cmp_eq_u64_e32 vcc_lo, 0, v[0:1]
	v_dual_cndmask_b32 v1, v1, v14 :: v_dual_cndmask_b32 v0, v0, v13
	v_and_b32_e32 v3, v1, v3
	s_delay_alu instid0(VALU_DEP_2) | instskip(NEXT) | instid1(VALU_DEP_2)
	v_and_b32_e32 v2, v0, v2
	v_mul_lo_u32 v3, v3, 24
	s_delay_alu instid0(VALU_DEP_2) | instskip(SKIP_1) | instid1(VALU_DEP_2)
	v_mul_hi_u32 v13, v2, 24
	v_mul_lo_u32 v2, v2, 24
	v_add_nc_u32_e32 v3, v13, v3
	s_waitcnt vmcnt(0)
	s_delay_alu instid0(VALU_DEP_2) | instskip(SKIP_1) | instid1(VALU_DEP_3)
	v_add_co_u32 v8, vcc_lo, v8, v2
	v_mov_b32_e32 v2, v11
	v_add_co_ci_u32_e32 v9, vcc_lo, v9, v3, vcc_lo
	v_mov_b32_e32 v3, v12
	global_store_b64 v[8:9], v[11:12], off
	s_waitcnt_vscnt null, 0x0
	global_atomic_cmpswap_b64 v[2:3], v10, v[0:3], s[2:3] offset:24 glc
	s_waitcnt vmcnt(0)
	v_cmp_ne_u64_e32 vcc_lo, v[2:3], v[11:12]
	s_and_b32 exec_lo, exec_lo, vcc_lo
	s_cbranch_execz .LBB1_248
; %bb.246:
	s_mov_b32 s0, 0
.LBB1_247:                              ; =>This Inner Loop Header: Depth=1
	s_sleep 1
	global_store_b64 v[8:9], v[2:3], off
	s_waitcnt_vscnt null, 0x0
	global_atomic_cmpswap_b64 v[11:12], v10, v[0:3], s[2:3] offset:24 glc
	s_waitcnt vmcnt(0)
	v_cmp_eq_u64_e32 vcc_lo, v[11:12], v[2:3]
	v_dual_mov_b32 v2, v11 :: v_dual_mov_b32 v3, v12
	s_or_b32 s0, vcc_lo, s0
	s_delay_alu instid0(SALU_CYCLE_1)
	s_and_not1_b32 exec_lo, exec_lo, s0
	s_cbranch_execnz .LBB1_247
.LBB1_248:
	s_or_b32 exec_lo, exec_lo, s1
.LBB1_249:
	v_readfirstlane_b32 s0, v35
	v_mov_b32_e32 v10, 0
	v_mov_b32_e32 v11, 0
	s_delay_alu instid0(VALU_DEP_3) | instskip(NEXT) | instid1(VALU_DEP_1)
	v_cmp_eq_u32_e64 s0, s0, v35
	s_and_saveexec_b32 s1, s0
	s_cbranch_execz .LBB1_255
; %bb.250:
	s_waitcnt vmcnt(0)
	v_mov_b32_e32 v0, 0
	s_mov_b32 s4, exec_lo
	global_load_b64 v[12:13], v0, s[2:3] offset:24 glc
	s_waitcnt vmcnt(0)
	buffer_gl1_inv
	buffer_gl0_inv
	s_clause 0x1
	global_load_b64 v[1:2], v0, s[2:3] offset:40
	global_load_b64 v[8:9], v0, s[2:3]
	s_waitcnt vmcnt(1)
	v_and_b32_e32 v1, v1, v12
	v_and_b32_e32 v2, v2, v13
	s_delay_alu instid0(VALU_DEP_2) | instskip(NEXT) | instid1(VALU_DEP_2)
	v_mul_hi_u32 v3, v1, 24
	v_mul_lo_u32 v2, v2, 24
	v_mul_lo_u32 v1, v1, 24
	s_delay_alu instid0(VALU_DEP_2) | instskip(SKIP_1) | instid1(VALU_DEP_2)
	v_add_nc_u32_e32 v2, v3, v2
	s_waitcnt vmcnt(0)
	v_add_co_u32 v1, vcc_lo, v8, v1
	s_delay_alu instid0(VALU_DEP_2)
	v_add_co_ci_u32_e32 v2, vcc_lo, v9, v2, vcc_lo
	global_load_b64 v[10:11], v[1:2], off glc
	s_waitcnt vmcnt(0)
	global_atomic_cmpswap_b64 v[10:11], v0, v[10:13], s[2:3] offset:24 glc
	s_waitcnt vmcnt(0)
	buffer_gl1_inv
	buffer_gl0_inv
	v_cmpx_ne_u64_e64 v[10:11], v[12:13]
	s_cbranch_execz .LBB1_254
; %bb.251:
	s_mov_b32 s5, 0
	.p2align	6
.LBB1_252:                              ; =>This Inner Loop Header: Depth=1
	s_sleep 1
	s_clause 0x1
	global_load_b64 v[1:2], v0, s[2:3] offset:40
	global_load_b64 v[8:9], v0, s[2:3]
	v_dual_mov_b32 v13, v11 :: v_dual_mov_b32 v12, v10
	s_waitcnt vmcnt(1)
	s_delay_alu instid0(VALU_DEP_1) | instskip(SKIP_1) | instid1(VALU_DEP_1)
	v_and_b32_e32 v1, v1, v12
	s_waitcnt vmcnt(0)
	v_mad_u64_u32 v[10:11], null, v1, 24, v[8:9]
	s_delay_alu instid0(VALU_DEP_1) | instskip(NEXT) | instid1(VALU_DEP_1)
	v_dual_mov_b32 v1, v11 :: v_dual_and_b32 v8, v2, v13
	v_mad_u64_u32 v[2:3], null, v8, 24, v[1:2]
	s_delay_alu instid0(VALU_DEP_1)
	v_mov_b32_e32 v11, v2
	global_load_b64 v[10:11], v[10:11], off glc
	s_waitcnt vmcnt(0)
	global_atomic_cmpswap_b64 v[10:11], v0, v[10:13], s[2:3] offset:24 glc
	s_waitcnt vmcnt(0)
	buffer_gl1_inv
	buffer_gl0_inv
	v_cmp_eq_u64_e32 vcc_lo, v[10:11], v[12:13]
	s_or_b32 s5, vcc_lo, s5
	s_delay_alu instid0(SALU_CYCLE_1)
	s_and_not1_b32 exec_lo, exec_lo, s5
	s_cbranch_execnz .LBB1_252
; %bb.253:
	s_or_b32 exec_lo, exec_lo, s5
.LBB1_254:
	s_delay_alu instid0(SALU_CYCLE_1)
	s_or_b32 exec_lo, exec_lo, s4
.LBB1_255:
	s_delay_alu instid0(SALU_CYCLE_1)
	s_or_b32 exec_lo, exec_lo, s1
	s_waitcnt vmcnt(0)
	v_mov_b32_e32 v9, 0
	v_readfirstlane_b32 s4, v10
	v_readfirstlane_b32 s5, v11
	s_mov_b32 s1, exec_lo
	s_clause 0x1
	global_load_b64 v[12:13], v9, s[2:3] offset:40
	global_load_b128 v[0:3], v9, s[2:3]
	s_waitcnt vmcnt(1)
	v_readfirstlane_b32 s6, v12
	v_readfirstlane_b32 s7, v13
	s_delay_alu instid0(VALU_DEP_1) | instskip(NEXT) | instid1(SALU_CYCLE_1)
	s_and_b64 s[6:7], s[4:5], s[6:7]
	s_mul_i32 s10, s7, 24
	s_mul_hi_u32 s11, s6, 24
	s_mul_i32 s12, s6, 24
	s_add_i32 s11, s11, s10
	s_waitcnt vmcnt(0)
	v_add_co_u32 v10, vcc_lo, v0, s12
	v_add_co_ci_u32_e32 v11, vcc_lo, s11, v1, vcc_lo
	s_and_saveexec_b32 s10, s0
	s_cbranch_execz .LBB1_257
; %bb.256:
	v_dual_mov_b32 v8, s1 :: v_dual_mov_b32 v15, 1
	v_dual_mov_b32 v14, 2 :: v_dual_mov_b32 v13, v9
	s_delay_alu instid0(VALU_DEP_2)
	v_mov_b32_e32 v12, v8
	global_store_b128 v[10:11], v[12:15], off offset:8
.LBB1_257:
	s_or_b32 exec_lo, exec_lo, s10
	s_lshl_b64 s[6:7], s[6:7], 12
	s_mov_b32 s12, 0
	v_add_co_u32 v2, vcc_lo, v2, s6
	v_add_co_ci_u32_e32 v3, vcc_lo, s7, v3, vcc_lo
	s_mov_b32 s15, s12
	s_delay_alu instid0(VALU_DEP_2)
	v_add_co_u32 v12, vcc_lo, v2, v34
	s_mov_b32 s13, s12
	s_mov_b32 s14, s12
	v_and_or_b32 v6, 0xffffff1f, v6, 32
	v_dual_mov_b32 v8, 0x331 :: v_dual_mov_b32 v17, s15
	v_readfirstlane_b32 s6, v2
	v_readfirstlane_b32 s7, v3
	v_add_co_ci_u32_e32 v13, vcc_lo, 0, v3, vcc_lo
	v_dual_mov_b32 v16, s14 :: v_dual_mov_b32 v15, s13
	v_mov_b32_e32 v14, s12
	s_clause 0x3
	global_store_b128 v34, v[6:9], s[6:7]
	global_store_b128 v34, v[14:17], s[6:7] offset:16
	global_store_b128 v34, v[14:17], s[6:7] offset:32
	;; [unrolled: 1-line block ×3, first 2 shown]
	s_and_saveexec_b32 s1, s0
	s_cbranch_execz .LBB1_265
; %bb.258:
	v_dual_mov_b32 v8, 0 :: v_dual_mov_b32 v15, s5
	v_mov_b32_e32 v14, s4
	s_clause 0x1
	global_load_b64 v[16:17], v8, s[2:3] offset:32 glc
	global_load_b64 v[2:3], v8, s[2:3] offset:40
	s_waitcnt vmcnt(0)
	v_readfirstlane_b32 s6, v2
	v_readfirstlane_b32 s7, v3
	s_delay_alu instid0(VALU_DEP_1) | instskip(NEXT) | instid1(SALU_CYCLE_1)
	s_and_b64 s[6:7], s[6:7], s[4:5]
	s_mul_i32 s7, s7, 24
	s_mul_hi_u32 s10, s6, 24
	s_mul_i32 s6, s6, 24
	s_add_i32 s10, s10, s7
	v_add_co_u32 v6, vcc_lo, v0, s6
	v_add_co_ci_u32_e32 v7, vcc_lo, s10, v1, vcc_lo
	s_mov_b32 s6, exec_lo
	global_store_b64 v[6:7], v[16:17], off
	s_waitcnt_vscnt null, 0x0
	global_atomic_cmpswap_b64 v[2:3], v8, v[14:17], s[2:3] offset:32 glc
	s_waitcnt vmcnt(0)
	v_cmpx_ne_u64_e64 v[2:3], v[16:17]
	s_cbranch_execz .LBB1_261
; %bb.259:
	s_mov_b32 s7, 0
.LBB1_260:                              ; =>This Inner Loop Header: Depth=1
	v_dual_mov_b32 v0, s4 :: v_dual_mov_b32 v1, s5
	s_sleep 1
	global_store_b64 v[6:7], v[2:3], off
	s_waitcnt_vscnt null, 0x0
	global_atomic_cmpswap_b64 v[0:1], v8, v[0:3], s[2:3] offset:32 glc
	s_waitcnt vmcnt(0)
	v_cmp_eq_u64_e32 vcc_lo, v[0:1], v[2:3]
	v_dual_mov_b32 v3, v1 :: v_dual_mov_b32 v2, v0
	s_or_b32 s7, vcc_lo, s7
	s_delay_alu instid0(SALU_CYCLE_1)
	s_and_not1_b32 exec_lo, exec_lo, s7
	s_cbranch_execnz .LBB1_260
.LBB1_261:
	s_or_b32 exec_lo, exec_lo, s6
	v_mov_b32_e32 v3, 0
	s_mov_b32 s7, exec_lo
	s_mov_b32 s6, exec_lo
	v_mbcnt_lo_u32_b32 v2, s7, 0
	global_load_b64 v[0:1], v3, s[2:3] offset:16
	v_cmpx_eq_u32_e32 0, v2
	s_cbranch_execz .LBB1_263
; %bb.262:
	s_bcnt1_i32_b32 s7, s7
	s_delay_alu instid0(SALU_CYCLE_1)
	v_mov_b32_e32 v2, s7
	s_waitcnt vmcnt(0)
	global_atomic_add_u64 v[0:1], v[2:3], off offset:8
.LBB1_263:
	s_or_b32 exec_lo, exec_lo, s6
	s_waitcnt vmcnt(0)
	global_load_b64 v[2:3], v[0:1], off offset:16
	s_waitcnt vmcnt(0)
	v_cmp_eq_u64_e32 vcc_lo, 0, v[2:3]
	s_cbranch_vccnz .LBB1_265
; %bb.264:
	global_load_b32 v0, v[0:1], off offset:24
	s_waitcnt vmcnt(0)
	v_dual_mov_b32 v1, 0 :: v_dual_and_b32 v6, 0xffffff, v0
	s_waitcnt_vscnt null, 0x0
	global_store_b64 v[2:3], v[0:1], off
	v_readfirstlane_b32 m0, v6
	s_sendmsg sendmsg(MSG_INTERRUPT)
.LBB1_265:
	s_or_b32 exec_lo, exec_lo, s1
	s_branch .LBB1_269
	.p2align	6
.LBB1_266:                              ;   in Loop: Header=BB1_269 Depth=1
	s_or_b32 exec_lo, exec_lo, s1
	s_delay_alu instid0(VALU_DEP_1) | instskip(NEXT) | instid1(VALU_DEP_1)
	v_readfirstlane_b32 s1, v0
	s_cmp_eq_u32 s1, 0
	s_cbranch_scc1 .LBB1_268
; %bb.267:                              ;   in Loop: Header=BB1_269 Depth=1
	s_sleep 1
	s_cbranch_execnz .LBB1_269
	s_branch .LBB1_271
	.p2align	6
.LBB1_268:
	s_branch .LBB1_271
.LBB1_269:                              ; =>This Inner Loop Header: Depth=1
	v_mov_b32_e32 v0, 1
	s_and_saveexec_b32 s1, s0
	s_cbranch_execz .LBB1_266
; %bb.270:                              ;   in Loop: Header=BB1_269 Depth=1
	global_load_b32 v0, v[10:11], off offset:20 glc
	s_waitcnt vmcnt(0)
	buffer_gl1_inv
	buffer_gl0_inv
	v_and_b32_e32 v0, 1, v0
	s_branch .LBB1_266
.LBB1_271:
	global_load_b64 v[0:1], v[12:13], off
	s_and_saveexec_b32 s1, s0
	s_cbranch_execz .LBB1_275
; %bb.272:
	v_mov_b32_e32 v10, 0
	s_clause 0x2
	global_load_b64 v[2:3], v10, s[2:3] offset:40
	global_load_b64 v[11:12], v10, s[2:3] offset:24 glc
	global_load_b64 v[8:9], v10, s[2:3]
	s_waitcnt vmcnt(2)
	v_add_co_u32 v13, vcc_lo, v2, 1
	v_add_co_ci_u32_e32 v14, vcc_lo, 0, v3, vcc_lo
	s_delay_alu instid0(VALU_DEP_2) | instskip(NEXT) | instid1(VALU_DEP_2)
	v_add_co_u32 v6, vcc_lo, v13, s4
	v_add_co_ci_u32_e32 v7, vcc_lo, s5, v14, vcc_lo
	s_delay_alu instid0(VALU_DEP_1) | instskip(SKIP_1) | instid1(VALU_DEP_1)
	v_cmp_eq_u64_e32 vcc_lo, 0, v[6:7]
	v_dual_cndmask_b32 v7, v7, v14 :: v_dual_cndmask_b32 v6, v6, v13
	v_and_b32_e32 v3, v7, v3
	s_delay_alu instid0(VALU_DEP_2) | instskip(NEXT) | instid1(VALU_DEP_2)
	v_and_b32_e32 v2, v6, v2
	v_mul_lo_u32 v3, v3, 24
	s_delay_alu instid0(VALU_DEP_2) | instskip(SKIP_1) | instid1(VALU_DEP_2)
	v_mul_hi_u32 v13, v2, 24
	v_mul_lo_u32 v2, v2, 24
	v_add_nc_u32_e32 v3, v13, v3
	s_waitcnt vmcnt(0)
	s_delay_alu instid0(VALU_DEP_2) | instskip(SKIP_1) | instid1(VALU_DEP_3)
	v_add_co_u32 v2, vcc_lo, v8, v2
	v_mov_b32_e32 v8, v11
	v_add_co_ci_u32_e32 v3, vcc_lo, v9, v3, vcc_lo
	v_mov_b32_e32 v9, v12
	global_store_b64 v[2:3], v[11:12], off
	s_waitcnt_vscnt null, 0x0
	global_atomic_cmpswap_b64 v[8:9], v10, v[6:9], s[2:3] offset:24 glc
	s_waitcnt vmcnt(0)
	v_cmp_ne_u64_e32 vcc_lo, v[8:9], v[11:12]
	s_and_b32 exec_lo, exec_lo, vcc_lo
	s_cbranch_execz .LBB1_275
; %bb.273:
	s_mov_b32 s0, 0
.LBB1_274:                              ; =>This Inner Loop Header: Depth=1
	s_sleep 1
	global_store_b64 v[2:3], v[8:9], off
	s_waitcnt_vscnt null, 0x0
	global_atomic_cmpswap_b64 v[11:12], v10, v[6:9], s[2:3] offset:24 glc
	s_waitcnt vmcnt(0)
	v_cmp_eq_u64_e32 vcc_lo, v[11:12], v[8:9]
	v_dual_mov_b32 v8, v11 :: v_dual_mov_b32 v9, v12
	s_or_b32 s0, vcc_lo, s0
	s_delay_alu instid0(SALU_CYCLE_1)
	s_and_not1_b32 exec_lo, exec_lo, s0
	s_cbranch_execnz .LBB1_274
.LBB1_275:
	s_or_b32 exec_lo, exec_lo, s1
	v_dual_mov_b32 v7, v5 :: v_dual_mov_b32 v6, v4
	s_mov_b32 s0, 0
.LBB1_276:                              ; =>This Inner Loop Header: Depth=1
	flat_load_u8 v8, v[6:7]
	v_add_co_u32 v2, vcc_lo, v6, 1
	v_add_co_ci_u32_e32 v3, vcc_lo, 0, v7, vcc_lo
	s_delay_alu instid0(VALU_DEP_1) | instskip(SKIP_3) | instid1(SALU_CYCLE_1)
	v_dual_mov_b32 v7, v3 :: v_dual_mov_b32 v6, v2
	s_waitcnt vmcnt(0) lgkmcnt(0)
	v_cmp_eq_u16_e32 vcc_lo, 0, v8
	s_or_b32 s0, vcc_lo, s0
	s_and_not1_b32 exec_lo, exec_lo, s0
	s_cbranch_execnz .LBB1_276
; %bb.277:
	s_or_b32 exec_lo, exec_lo, s0
	s_delay_alu instid0(SALU_CYCLE_1)
	s_mov_b32 s0, exec_lo
	v_cmpx_ne_u64_e32 0, v[4:5]
	s_xor_b32 s10, exec_lo, s0
	s_cbranch_execz .LBB1_363
; %bb.278:
	v_sub_nc_u32_e32 v26, v2, v4
	v_dual_mov_b32 v7, 0 :: v_dual_and_b32 v32, 2, v0
	v_dual_mov_b32 v9, 1 :: v_dual_and_b32 v0, -3, v0
	v_mov_b32_e32 v8, 2
	s_delay_alu instid0(VALU_DEP_4)
	v_ashrrev_i32_e32 v27, 31, v26
	s_mov_b32 s12, 0
	s_mov_b32 s11, 0
	s_branch .LBB1_280
.LBB1_279:                              ;   in Loop: Header=BB1_280 Depth=1
	s_or_b32 exec_lo, exec_lo, s1
	v_sub_co_u32 v26, vcc_lo, v26, v28
	v_sub_co_ci_u32_e32 v27, vcc_lo, v27, v29, vcc_lo
	v_add_co_u32 v4, s0, v4, v28
	s_delay_alu instid0(VALU_DEP_1) | instskip(NEXT) | instid1(VALU_DEP_3)
	v_add_co_ci_u32_e64 v5, s0, v5, v29, s0
	v_cmp_eq_u64_e32 vcc_lo, 0, v[26:27]
	s_or_b32 s11, vcc_lo, s11
	s_delay_alu instid0(SALU_CYCLE_1)
	s_and_not1_b32 exec_lo, exec_lo, s11
	s_cbranch_execz .LBB1_362
.LBB1_280:                              ; =>This Loop Header: Depth=1
                                        ;     Child Loop BB1_283 Depth 2
                                        ;     Child Loop BB1_291 Depth 2
	;; [unrolled: 1-line block ×11, first 2 shown]
	s_delay_alu instid0(VALU_DEP_1)
	v_cmp_gt_u64_e32 vcc_lo, 56, v[26:27]
	s_mov_b32 s1, exec_lo
                                        ; implicit-def: $vgpr2_vgpr3
                                        ; implicit-def: $sgpr4
	v_dual_cndmask_b32 v29, 0, v27 :: v_dual_cndmask_b32 v28, 56, v26
	v_cmpx_gt_u64_e32 8, v[26:27]
	s_xor_b32 s1, exec_lo, s1
	s_cbranch_execz .LBB1_286
; %bb.281:                              ;   in Loop: Header=BB1_280 Depth=1
	s_waitcnt vmcnt(0)
	v_mov_b32_e32 v2, 0
	v_mov_b32_e32 v3, 0
	s_mov_b64 s[4:5], 0
	s_mov_b32 s6, exec_lo
	v_cmpx_ne_u64_e32 0, v[26:27]
	s_cbranch_execz .LBB1_285
; %bb.282:                              ;   in Loop: Header=BB1_280 Depth=1
	v_lshlrev_b64 v[10:11], 3, v[28:29]
	v_mov_b32_e32 v2, 0
	v_dual_mov_b32 v3, 0 :: v_dual_mov_b32 v12, v5
	v_mov_b32_e32 v11, v4
	s_mov_b32 s7, 0
	.p2align	6
.LBB1_283:                              ;   Parent Loop BB1_280 Depth=1
                                        ; =>  This Inner Loop Header: Depth=2
	flat_load_u8 v6, v[11:12]
	v_mov_b32_e32 v14, s12
	v_add_co_u32 v11, vcc_lo, v11, 1
	v_add_co_ci_u32_e32 v12, vcc_lo, 0, v12, vcc_lo
	s_waitcnt vmcnt(0) lgkmcnt(0)
	v_and_b32_e32 v13, 0xffff, v6
	s_delay_alu instid0(VALU_DEP_1) | instskip(SKIP_3) | instid1(VALU_DEP_2)
	v_lshlrev_b64 v[13:14], s4, v[13:14]
	s_add_u32 s4, s4, 8
	s_addc_u32 s5, s5, 0
	v_cmp_eq_u32_e64 s0, s4, v10
	v_or_b32_e32 v3, v14, v3
	s_delay_alu instid0(VALU_DEP_3) | instskip(NEXT) | instid1(VALU_DEP_3)
	v_or_b32_e32 v2, v13, v2
	s_or_b32 s7, s0, s7
	s_delay_alu instid0(SALU_CYCLE_1)
	s_and_not1_b32 exec_lo, exec_lo, s7
	s_cbranch_execnz .LBB1_283
; %bb.284:                              ;   in Loop: Header=BB1_280 Depth=1
	s_or_b32 exec_lo, exec_lo, s7
.LBB1_285:                              ;   in Loop: Header=BB1_280 Depth=1
	s_delay_alu instid0(SALU_CYCLE_1)
	s_or_b32 exec_lo, exec_lo, s6
	s_mov_b32 s4, 0
.LBB1_286:                              ;   in Loop: Header=BB1_280 Depth=1
	s_or_saveexec_b32 s0, s1
	v_dual_mov_b32 v6, s4 :: v_dual_mov_b32 v23, v5
	v_mov_b32_e32 v22, v4
	s_xor_b32 exec_lo, exec_lo, s0
	s_cbranch_execz .LBB1_288
; %bb.287:                              ;   in Loop: Header=BB1_280 Depth=1
	s_waitcnt vmcnt(0)
	flat_load_b64 v[2:3], v[4:5]
	v_add_co_u32 v22, vcc_lo, v4, 8
	v_add_co_ci_u32_e32 v23, vcc_lo, 0, v5, vcc_lo
	s_waitcnt vmcnt(0) lgkmcnt(0)
	v_and_b32_e32 v6, 0xff, v3
	v_and_b32_e32 v10, 0xff00, v3
	;; [unrolled: 1-line block ×4, first 2 shown]
	v_or3_b32 v2, v2, 0, 0
	s_delay_alu instid0(VALU_DEP_4) | instskip(SKIP_1) | instid1(VALU_DEP_2)
	v_or_b32_e32 v10, v6, v10
	v_add_nc_u32_e32 v6, -8, v28
	v_or3_b32 v3, v10, v11, v3
.LBB1_288:                              ;   in Loop: Header=BB1_280 Depth=1
	s_or_b32 exec_lo, exec_lo, s0
                                        ; implicit-def: $vgpr10_vgpr11
                                        ; implicit-def: $sgpr1
	s_delay_alu instid0(SALU_CYCLE_1) | instskip(NEXT) | instid1(VALU_DEP_2)
	s_mov_b32 s0, exec_lo
	v_cmpx_gt_u32_e32 8, v6
	s_xor_b32 s6, exec_lo, s0
	s_cbranch_execz .LBB1_294
; %bb.289:                              ;   in Loop: Header=BB1_280 Depth=1
	v_mov_b32_e32 v10, 0
	v_mov_b32_e32 v11, 0
	s_mov_b32 s7, exec_lo
	v_cmpx_ne_u32_e32 0, v6
	s_cbranch_execz .LBB1_293
; %bb.290:                              ;   in Loop: Header=BB1_280 Depth=1
	v_mov_b32_e32 v10, 0
	v_mov_b32_e32 v11, 0
	s_mov_b64 s[0:1], 0
	s_mov_b32 s13, 0
	s_mov_b64 s[4:5], 0
	.p2align	6
.LBB1_291:                              ;   Parent Loop BB1_280 Depth=1
                                        ; =>  This Inner Loop Header: Depth=2
	s_delay_alu instid0(SALU_CYCLE_1)
	v_add_co_u32 v12, vcc_lo, v22, s4
	v_add_co_ci_u32_e32 v13, vcc_lo, s5, v23, vcc_lo
	s_add_u32 s4, s4, 1
	s_addc_u32 s5, s5, 0
	v_cmp_eq_u32_e32 vcc_lo, s4, v6
	flat_load_u8 v12, v[12:13]
	s_waitcnt vmcnt(0) lgkmcnt(0)
	v_dual_mov_b32 v13, s12 :: v_dual_and_b32 v12, 0xffff, v12
	s_delay_alu instid0(VALU_DEP_1) | instskip(SKIP_3) | instid1(VALU_DEP_1)
	v_lshlrev_b64 v[12:13], s0, v[12:13]
	s_add_u32 s0, s0, 8
	s_addc_u32 s1, s1, 0
	s_or_b32 s13, vcc_lo, s13
	v_or_b32_e32 v11, v13, v11
	s_delay_alu instid0(VALU_DEP_2)
	v_or_b32_e32 v10, v12, v10
	s_and_not1_b32 exec_lo, exec_lo, s13
	s_cbranch_execnz .LBB1_291
; %bb.292:                              ;   in Loop: Header=BB1_280 Depth=1
	s_or_b32 exec_lo, exec_lo, s13
.LBB1_293:                              ;   in Loop: Header=BB1_280 Depth=1
	s_delay_alu instid0(SALU_CYCLE_1)
	s_or_b32 exec_lo, exec_lo, s7
	s_mov_b32 s1, 0
                                        ; implicit-def: $vgpr6
.LBB1_294:                              ;   in Loop: Header=BB1_280 Depth=1
	s_or_saveexec_b32 s0, s6
	v_mov_b32_e32 v14, s1
	s_xor_b32 exec_lo, exec_lo, s0
	s_cbranch_execz .LBB1_296
; %bb.295:                              ;   in Loop: Header=BB1_280 Depth=1
	flat_load_b64 v[10:11], v[22:23]
	v_add_co_u32 v22, vcc_lo, v22, 8
	v_add_nc_u32_e32 v14, -8, v6
	v_add_co_ci_u32_e32 v23, vcc_lo, 0, v23, vcc_lo
	s_waitcnt vmcnt(0) lgkmcnt(0)
	v_and_b32_e32 v12, 0xff, v11
	v_and_b32_e32 v13, 0xff00, v11
	;; [unrolled: 1-line block ×4, first 2 shown]
	v_or3_b32 v10, v10, 0, 0
	s_delay_alu instid0(VALU_DEP_4) | instskip(NEXT) | instid1(VALU_DEP_1)
	v_or_b32_e32 v12, v12, v13
	v_or3_b32 v11, v12, v15, v11
.LBB1_296:                              ;   in Loop: Header=BB1_280 Depth=1
	s_or_b32 exec_lo, exec_lo, s0
                                        ; implicit-def: $sgpr1
	s_delay_alu instid0(SALU_CYCLE_1)
	s_mov_b32 s0, exec_lo
	v_cmpx_gt_u32_e32 8, v14
	s_xor_b32 s6, exec_lo, s0
	s_cbranch_execz .LBB1_302
; %bb.297:                              ;   in Loop: Header=BB1_280 Depth=1
	v_mov_b32_e32 v12, 0
	v_mov_b32_e32 v13, 0
	s_mov_b32 s7, exec_lo
	v_cmpx_ne_u32_e32 0, v14
	s_cbranch_execz .LBB1_301
; %bb.298:                              ;   in Loop: Header=BB1_280 Depth=1
	v_mov_b32_e32 v12, 0
	v_mov_b32_e32 v13, 0
	s_mov_b64 s[0:1], 0
	s_mov_b32 s13, 0
	s_mov_b64 s[4:5], 0
	.p2align	6
.LBB1_299:                              ;   Parent Loop BB1_280 Depth=1
                                        ; =>  This Inner Loop Header: Depth=2
	s_delay_alu instid0(SALU_CYCLE_1)
	v_add_co_u32 v15, vcc_lo, v22, s4
	v_add_co_ci_u32_e32 v16, vcc_lo, s5, v23, vcc_lo
	s_add_u32 s4, s4, 1
	s_addc_u32 s5, s5, 0
	v_cmp_eq_u32_e32 vcc_lo, s4, v14
	flat_load_u8 v6, v[15:16]
	s_waitcnt vmcnt(0) lgkmcnt(0)
	v_dual_mov_b32 v16, s12 :: v_dual_and_b32 v15, 0xffff, v6
	s_delay_alu instid0(VALU_DEP_1) | instskip(SKIP_3) | instid1(VALU_DEP_1)
	v_lshlrev_b64 v[15:16], s0, v[15:16]
	s_add_u32 s0, s0, 8
	s_addc_u32 s1, s1, 0
	s_or_b32 s13, vcc_lo, s13
	v_or_b32_e32 v13, v16, v13
	s_delay_alu instid0(VALU_DEP_2)
	v_or_b32_e32 v12, v15, v12
	s_and_not1_b32 exec_lo, exec_lo, s13
	s_cbranch_execnz .LBB1_299
; %bb.300:                              ;   in Loop: Header=BB1_280 Depth=1
	s_or_b32 exec_lo, exec_lo, s13
.LBB1_301:                              ;   in Loop: Header=BB1_280 Depth=1
	s_delay_alu instid0(SALU_CYCLE_1)
	s_or_b32 exec_lo, exec_lo, s7
	s_mov_b32 s1, 0
                                        ; implicit-def: $vgpr14
.LBB1_302:                              ;   in Loop: Header=BB1_280 Depth=1
	s_or_saveexec_b32 s0, s6
	v_mov_b32_e32 v6, s1
	s_xor_b32 exec_lo, exec_lo, s0
	s_cbranch_execz .LBB1_304
; %bb.303:                              ;   in Loop: Header=BB1_280 Depth=1
	flat_load_b64 v[12:13], v[22:23]
	v_add_co_u32 v22, vcc_lo, v22, 8
	v_add_co_ci_u32_e32 v23, vcc_lo, 0, v23, vcc_lo
	s_waitcnt vmcnt(0) lgkmcnt(0)
	v_and_b32_e32 v6, 0xff, v13
	v_and_b32_e32 v15, 0xff00, v13
	;; [unrolled: 1-line block ×4, first 2 shown]
	v_or3_b32 v12, v12, 0, 0
	s_delay_alu instid0(VALU_DEP_4) | instskip(SKIP_1) | instid1(VALU_DEP_2)
	v_or_b32_e32 v15, v6, v15
	v_add_nc_u32_e32 v6, -8, v14
	v_or3_b32 v13, v15, v16, v13
.LBB1_304:                              ;   in Loop: Header=BB1_280 Depth=1
	s_or_b32 exec_lo, exec_lo, s0
                                        ; implicit-def: $vgpr14_vgpr15
                                        ; implicit-def: $sgpr1
	s_delay_alu instid0(SALU_CYCLE_1) | instskip(NEXT) | instid1(VALU_DEP_1)
	s_mov_b32 s0, exec_lo
	v_cmpx_gt_u32_e32 8, v6
	s_xor_b32 s6, exec_lo, s0
	s_cbranch_execz .LBB1_310
; %bb.305:                              ;   in Loop: Header=BB1_280 Depth=1
	v_mov_b32_e32 v14, 0
	v_mov_b32_e32 v15, 0
	s_mov_b32 s7, exec_lo
	v_cmpx_ne_u32_e32 0, v6
	s_cbranch_execz .LBB1_309
; %bb.306:                              ;   in Loop: Header=BB1_280 Depth=1
	v_mov_b32_e32 v14, 0
	v_mov_b32_e32 v15, 0
	s_mov_b64 s[0:1], 0
	s_mov_b32 s13, 0
	s_mov_b64 s[4:5], 0
	.p2align	6
.LBB1_307:                              ;   Parent Loop BB1_280 Depth=1
                                        ; =>  This Inner Loop Header: Depth=2
	s_delay_alu instid0(SALU_CYCLE_1)
	v_add_co_u32 v16, vcc_lo, v22, s4
	v_add_co_ci_u32_e32 v17, vcc_lo, s5, v23, vcc_lo
	s_add_u32 s4, s4, 1
	s_addc_u32 s5, s5, 0
	v_cmp_eq_u32_e32 vcc_lo, s4, v6
	flat_load_u8 v16, v[16:17]
	s_waitcnt vmcnt(0) lgkmcnt(0)
	v_dual_mov_b32 v17, s12 :: v_dual_and_b32 v16, 0xffff, v16
	s_delay_alu instid0(VALU_DEP_1) | instskip(SKIP_3) | instid1(VALU_DEP_1)
	v_lshlrev_b64 v[16:17], s0, v[16:17]
	s_add_u32 s0, s0, 8
	s_addc_u32 s1, s1, 0
	s_or_b32 s13, vcc_lo, s13
	v_or_b32_e32 v15, v17, v15
	s_delay_alu instid0(VALU_DEP_2)
	v_or_b32_e32 v14, v16, v14
	s_and_not1_b32 exec_lo, exec_lo, s13
	s_cbranch_execnz .LBB1_307
; %bb.308:                              ;   in Loop: Header=BB1_280 Depth=1
	s_or_b32 exec_lo, exec_lo, s13
.LBB1_309:                              ;   in Loop: Header=BB1_280 Depth=1
	s_delay_alu instid0(SALU_CYCLE_1)
	s_or_b32 exec_lo, exec_lo, s7
	s_mov_b32 s1, 0
                                        ; implicit-def: $vgpr6
.LBB1_310:                              ;   in Loop: Header=BB1_280 Depth=1
	s_or_saveexec_b32 s0, s6
	v_mov_b32_e32 v18, s1
	s_xor_b32 exec_lo, exec_lo, s0
	s_cbranch_execz .LBB1_312
; %bb.311:                              ;   in Loop: Header=BB1_280 Depth=1
	flat_load_b64 v[14:15], v[22:23]
	v_add_co_u32 v22, vcc_lo, v22, 8
	v_add_nc_u32_e32 v18, -8, v6
	v_add_co_ci_u32_e32 v23, vcc_lo, 0, v23, vcc_lo
	s_waitcnt vmcnt(0) lgkmcnt(0)
	v_and_b32_e32 v16, 0xff, v15
	v_and_b32_e32 v17, 0xff00, v15
	;; [unrolled: 1-line block ×4, first 2 shown]
	v_or3_b32 v14, v14, 0, 0
	s_delay_alu instid0(VALU_DEP_4) | instskip(NEXT) | instid1(VALU_DEP_1)
	v_or_b32_e32 v16, v16, v17
	v_or3_b32 v15, v16, v19, v15
.LBB1_312:                              ;   in Loop: Header=BB1_280 Depth=1
	s_or_b32 exec_lo, exec_lo, s0
                                        ; implicit-def: $sgpr1
	s_delay_alu instid0(SALU_CYCLE_1)
	s_mov_b32 s0, exec_lo
	v_cmpx_gt_u32_e32 8, v18
	s_xor_b32 s6, exec_lo, s0
	s_cbranch_execz .LBB1_318
; %bb.313:                              ;   in Loop: Header=BB1_280 Depth=1
	v_mov_b32_e32 v16, 0
	v_mov_b32_e32 v17, 0
	s_mov_b32 s7, exec_lo
	v_cmpx_ne_u32_e32 0, v18
	s_cbranch_execz .LBB1_317
; %bb.314:                              ;   in Loop: Header=BB1_280 Depth=1
	v_mov_b32_e32 v16, 0
	v_mov_b32_e32 v17, 0
	s_mov_b64 s[0:1], 0
	s_mov_b32 s13, 0
	s_mov_b64 s[4:5], 0
	.p2align	6
.LBB1_315:                              ;   Parent Loop BB1_280 Depth=1
                                        ; =>  This Inner Loop Header: Depth=2
	s_delay_alu instid0(SALU_CYCLE_1)
	v_add_co_u32 v19, vcc_lo, v22, s4
	v_add_co_ci_u32_e32 v20, vcc_lo, s5, v23, vcc_lo
	s_add_u32 s4, s4, 1
	s_addc_u32 s5, s5, 0
	v_cmp_eq_u32_e32 vcc_lo, s4, v18
	flat_load_u8 v6, v[19:20]
	s_waitcnt vmcnt(0) lgkmcnt(0)
	v_dual_mov_b32 v20, s12 :: v_dual_and_b32 v19, 0xffff, v6
	s_delay_alu instid0(VALU_DEP_1) | instskip(SKIP_3) | instid1(VALU_DEP_1)
	v_lshlrev_b64 v[19:20], s0, v[19:20]
	s_add_u32 s0, s0, 8
	s_addc_u32 s1, s1, 0
	s_or_b32 s13, vcc_lo, s13
	v_or_b32_e32 v17, v20, v17
	s_delay_alu instid0(VALU_DEP_2)
	v_or_b32_e32 v16, v19, v16
	s_and_not1_b32 exec_lo, exec_lo, s13
	s_cbranch_execnz .LBB1_315
; %bb.316:                              ;   in Loop: Header=BB1_280 Depth=1
	s_or_b32 exec_lo, exec_lo, s13
.LBB1_317:                              ;   in Loop: Header=BB1_280 Depth=1
	s_delay_alu instid0(SALU_CYCLE_1)
	s_or_b32 exec_lo, exec_lo, s7
	s_mov_b32 s1, 0
                                        ; implicit-def: $vgpr18
.LBB1_318:                              ;   in Loop: Header=BB1_280 Depth=1
	s_or_saveexec_b32 s0, s6
	v_mov_b32_e32 v6, s1
	s_xor_b32 exec_lo, exec_lo, s0
	s_cbranch_execz .LBB1_320
; %bb.319:                              ;   in Loop: Header=BB1_280 Depth=1
	flat_load_b64 v[16:17], v[22:23]
	v_add_co_u32 v22, vcc_lo, v22, 8
	v_add_co_ci_u32_e32 v23, vcc_lo, 0, v23, vcc_lo
	s_waitcnt vmcnt(0) lgkmcnt(0)
	v_and_b32_e32 v6, 0xff, v17
	v_and_b32_e32 v19, 0xff00, v17
	v_and_b32_e32 v20, 0xff0000, v17
	v_and_b32_e32 v17, 0xff000000, v17
	v_or3_b32 v16, v16, 0, 0
	s_delay_alu instid0(VALU_DEP_4) | instskip(SKIP_1) | instid1(VALU_DEP_2)
	v_or_b32_e32 v19, v6, v19
	v_add_nc_u32_e32 v6, -8, v18
	v_or3_b32 v17, v19, v20, v17
.LBB1_320:                              ;   in Loop: Header=BB1_280 Depth=1
	s_or_b32 exec_lo, exec_lo, s0
                                        ; implicit-def: $vgpr18_vgpr19
                                        ; implicit-def: $sgpr1
	s_delay_alu instid0(SALU_CYCLE_1) | instskip(NEXT) | instid1(VALU_DEP_1)
	s_mov_b32 s0, exec_lo
	v_cmpx_gt_u32_e32 8, v6
	s_xor_b32 s6, exec_lo, s0
	s_cbranch_execz .LBB1_326
; %bb.321:                              ;   in Loop: Header=BB1_280 Depth=1
	v_mov_b32_e32 v18, 0
	v_mov_b32_e32 v19, 0
	s_mov_b32 s7, exec_lo
	v_cmpx_ne_u32_e32 0, v6
	s_cbranch_execz .LBB1_325
; %bb.322:                              ;   in Loop: Header=BB1_280 Depth=1
	v_mov_b32_e32 v18, 0
	v_mov_b32_e32 v19, 0
	s_mov_b64 s[0:1], 0
	s_mov_b32 s13, 0
	s_mov_b64 s[4:5], 0
	.p2align	6
.LBB1_323:                              ;   Parent Loop BB1_280 Depth=1
                                        ; =>  This Inner Loop Header: Depth=2
	s_delay_alu instid0(SALU_CYCLE_1)
	v_add_co_u32 v20, vcc_lo, v22, s4
	v_add_co_ci_u32_e32 v21, vcc_lo, s5, v23, vcc_lo
	s_add_u32 s4, s4, 1
	s_addc_u32 s5, s5, 0
	v_cmp_eq_u32_e32 vcc_lo, s4, v6
	flat_load_u8 v20, v[20:21]
	s_waitcnt vmcnt(0) lgkmcnt(0)
	v_dual_mov_b32 v21, s12 :: v_dual_and_b32 v20, 0xffff, v20
	s_delay_alu instid0(VALU_DEP_1) | instskip(SKIP_3) | instid1(VALU_DEP_1)
	v_lshlrev_b64 v[20:21], s0, v[20:21]
	s_add_u32 s0, s0, 8
	s_addc_u32 s1, s1, 0
	s_or_b32 s13, vcc_lo, s13
	v_or_b32_e32 v19, v21, v19
	s_delay_alu instid0(VALU_DEP_2)
	v_or_b32_e32 v18, v20, v18
	s_and_not1_b32 exec_lo, exec_lo, s13
	s_cbranch_execnz .LBB1_323
; %bb.324:                              ;   in Loop: Header=BB1_280 Depth=1
	s_or_b32 exec_lo, exec_lo, s13
.LBB1_325:                              ;   in Loop: Header=BB1_280 Depth=1
	s_delay_alu instid0(SALU_CYCLE_1)
	s_or_b32 exec_lo, exec_lo, s7
	s_mov_b32 s1, 0
                                        ; implicit-def: $vgpr6
.LBB1_326:                              ;   in Loop: Header=BB1_280 Depth=1
	s_or_saveexec_b32 s0, s6
	v_mov_b32_e32 v24, s1
	s_xor_b32 exec_lo, exec_lo, s0
	s_cbranch_execz .LBB1_328
; %bb.327:                              ;   in Loop: Header=BB1_280 Depth=1
	flat_load_b64 v[18:19], v[22:23]
	v_add_co_u32 v22, vcc_lo, v22, 8
	v_add_nc_u32_e32 v24, -8, v6
	v_add_co_ci_u32_e32 v23, vcc_lo, 0, v23, vcc_lo
	s_waitcnt vmcnt(0) lgkmcnt(0)
	v_and_b32_e32 v20, 0xff, v19
	v_and_b32_e32 v21, 0xff00, v19
	;; [unrolled: 1-line block ×4, first 2 shown]
	v_or3_b32 v18, v18, 0, 0
	s_delay_alu instid0(VALU_DEP_4) | instskip(NEXT) | instid1(VALU_DEP_1)
	v_or_b32_e32 v20, v20, v21
	v_or3_b32 v19, v20, v25, v19
.LBB1_328:                              ;   in Loop: Header=BB1_280 Depth=1
	s_or_b32 exec_lo, exec_lo, s0
	s_delay_alu instid0(SALU_CYCLE_1)
	s_mov_b32 s0, exec_lo
	v_cmpx_gt_u32_e32 8, v24
	s_xor_b32 s4, exec_lo, s0
	s_cbranch_execz .LBB1_334
; %bb.329:                              ;   in Loop: Header=BB1_280 Depth=1
	v_mov_b32_e32 v20, 0
	v_mov_b32_e32 v21, 0
	s_mov_b32 s5, exec_lo
	v_cmpx_ne_u32_e32 0, v24
	s_cbranch_execz .LBB1_333
; %bb.330:                              ;   in Loop: Header=BB1_280 Depth=1
	v_mov_b32_e32 v20, 0
	v_mov_b32_e32 v21, 0
	s_mov_b64 s[0:1], 0
	s_mov_b32 s6, 0
	.p2align	6
.LBB1_331:                              ;   Parent Loop BB1_280 Depth=1
                                        ; =>  This Inner Loop Header: Depth=2
	flat_load_u8 v6, v[22:23]
	v_dual_mov_b32 v31, s12 :: v_dual_add_nc_u32 v24, -1, v24
	v_add_co_u32 v22, vcc_lo, v22, 1
	v_add_co_ci_u32_e32 v23, vcc_lo, 0, v23, vcc_lo
	s_delay_alu instid0(VALU_DEP_3) | instskip(SKIP_2) | instid1(VALU_DEP_1)
	v_cmp_eq_u32_e32 vcc_lo, 0, v24
	s_waitcnt vmcnt(0) lgkmcnt(0)
	v_and_b32_e32 v30, 0xffff, v6
	v_lshlrev_b64 v[30:31], s0, v[30:31]
	s_add_u32 s0, s0, 8
	s_addc_u32 s1, s1, 0
	s_or_b32 s6, vcc_lo, s6
	s_delay_alu instid0(VALU_DEP_1) | instskip(NEXT) | instid1(VALU_DEP_2)
	v_or_b32_e32 v21, v31, v21
	v_or_b32_e32 v20, v30, v20
	s_and_not1_b32 exec_lo, exec_lo, s6
	s_cbranch_execnz .LBB1_331
; %bb.332:                              ;   in Loop: Header=BB1_280 Depth=1
	s_or_b32 exec_lo, exec_lo, s6
.LBB1_333:                              ;   in Loop: Header=BB1_280 Depth=1
	s_delay_alu instid0(SALU_CYCLE_1)
	s_or_b32 exec_lo, exec_lo, s5
                                        ; implicit-def: $vgpr22_vgpr23
.LBB1_334:                              ;   in Loop: Header=BB1_280 Depth=1
	s_and_not1_saveexec_b32 s0, s4
	s_cbranch_execz .LBB1_336
; %bb.335:                              ;   in Loop: Header=BB1_280 Depth=1
	flat_load_b64 v[20:21], v[22:23]
	s_waitcnt vmcnt(0) lgkmcnt(0)
	v_and_b32_e32 v6, 0xff, v21
	v_and_b32_e32 v22, 0xff00, v21
	;; [unrolled: 1-line block ×4, first 2 shown]
	v_or3_b32 v20, v20, 0, 0
	s_delay_alu instid0(VALU_DEP_4) | instskip(NEXT) | instid1(VALU_DEP_1)
	v_or_b32_e32 v6, v6, v22
	v_or3_b32 v21, v6, v23, v21
.LBB1_336:                              ;   in Loop: Header=BB1_280 Depth=1
	s_or_b32 exec_lo, exec_lo, s0
	v_readfirstlane_b32 s0, v35
	v_mov_b32_e32 v30, 0
	v_mov_b32_e32 v31, 0
	s_delay_alu instid0(VALU_DEP_3) | instskip(NEXT) | instid1(VALU_DEP_1)
	v_cmp_eq_u32_e64 s0, s0, v35
	s_and_saveexec_b32 s1, s0
	s_cbranch_execz .LBB1_342
; %bb.337:                              ;   in Loop: Header=BB1_280 Depth=1
	global_load_b64 v[24:25], v7, s[2:3] offset:24 glc
	s_waitcnt vmcnt(0)
	buffer_gl1_inv
	buffer_gl0_inv
	s_clause 0x1
	global_load_b64 v[22:23], v7, s[2:3] offset:40
	global_load_b64 v[30:31], v7, s[2:3]
	s_mov_b32 s4, exec_lo
	s_waitcnt vmcnt(1)
	v_and_b32_e32 v6, v23, v25
	v_and_b32_e32 v22, v22, v24
	s_delay_alu instid0(VALU_DEP_2) | instskip(NEXT) | instid1(VALU_DEP_2)
	v_mul_lo_u32 v6, v6, 24
	v_mul_hi_u32 v23, v22, 24
	v_mul_lo_u32 v22, v22, 24
	s_delay_alu instid0(VALU_DEP_2) | instskip(SKIP_1) | instid1(VALU_DEP_2)
	v_add_nc_u32_e32 v6, v23, v6
	s_waitcnt vmcnt(0)
	v_add_co_u32 v22, vcc_lo, v30, v22
	s_delay_alu instid0(VALU_DEP_2)
	v_add_co_ci_u32_e32 v23, vcc_lo, v31, v6, vcc_lo
	global_load_b64 v[22:23], v[22:23], off glc
	s_waitcnt vmcnt(0)
	global_atomic_cmpswap_b64 v[30:31], v7, v[22:25], s[2:3] offset:24 glc
	s_waitcnt vmcnt(0)
	buffer_gl1_inv
	buffer_gl0_inv
	v_cmpx_ne_u64_e64 v[30:31], v[24:25]
	s_cbranch_execz .LBB1_341
; %bb.338:                              ;   in Loop: Header=BB1_280 Depth=1
	s_mov_b32 s5, 0
	.p2align	6
.LBB1_339:                              ;   Parent Loop BB1_280 Depth=1
                                        ; =>  This Inner Loop Header: Depth=2
	s_sleep 1
	s_clause 0x1
	global_load_b64 v[22:23], v7, s[2:3] offset:40
	global_load_b64 v[36:37], v7, s[2:3]
	v_dual_mov_b32 v24, v30 :: v_dual_mov_b32 v25, v31
	s_waitcnt vmcnt(1)
	s_delay_alu instid0(VALU_DEP_1) | instskip(NEXT) | instid1(VALU_DEP_2)
	v_and_b32_e32 v6, v22, v24
	v_and_b32_e32 v33, v23, v25
	s_waitcnt vmcnt(0)
	s_delay_alu instid0(VALU_DEP_2) | instskip(NEXT) | instid1(VALU_DEP_1)
	v_mad_u64_u32 v[30:31], null, v6, 24, v[36:37]
	v_mov_b32_e32 v6, v31
	s_delay_alu instid0(VALU_DEP_1) | instskip(NEXT) | instid1(VALU_DEP_1)
	v_mad_u64_u32 v[22:23], null, v33, 24, v[6:7]
	v_mov_b32_e32 v31, v22
	global_load_b64 v[22:23], v[30:31], off glc
	s_waitcnt vmcnt(0)
	global_atomic_cmpswap_b64 v[30:31], v7, v[22:25], s[2:3] offset:24 glc
	s_waitcnt vmcnt(0)
	buffer_gl1_inv
	buffer_gl0_inv
	v_cmp_eq_u64_e32 vcc_lo, v[30:31], v[24:25]
	s_or_b32 s5, vcc_lo, s5
	s_delay_alu instid0(SALU_CYCLE_1)
	s_and_not1_b32 exec_lo, exec_lo, s5
	s_cbranch_execnz .LBB1_339
; %bb.340:                              ;   in Loop: Header=BB1_280 Depth=1
	s_or_b32 exec_lo, exec_lo, s5
.LBB1_341:                              ;   in Loop: Header=BB1_280 Depth=1
	s_delay_alu instid0(SALU_CYCLE_1)
	s_or_b32 exec_lo, exec_lo, s4
.LBB1_342:                              ;   in Loop: Header=BB1_280 Depth=1
	s_delay_alu instid0(SALU_CYCLE_1)
	s_or_b32 exec_lo, exec_lo, s1
	s_clause 0x1
	global_load_b64 v[36:37], v7, s[2:3] offset:40
	global_load_b128 v[22:25], v7, s[2:3]
	v_readfirstlane_b32 s4, v30
	v_readfirstlane_b32 s5, v31
	s_mov_b32 s1, exec_lo
	s_waitcnt vmcnt(1)
	v_readfirstlane_b32 s6, v36
	v_readfirstlane_b32 s7, v37
	s_delay_alu instid0(VALU_DEP_1) | instskip(NEXT) | instid1(SALU_CYCLE_1)
	s_and_b64 s[6:7], s[4:5], s[6:7]
	s_mul_i32 s13, s7, 24
	s_mul_hi_u32 s14, s6, 24
	s_mul_i32 s15, s6, 24
	s_add_i32 s14, s14, s13
	s_waitcnt vmcnt(0)
	v_add_co_u32 v30, vcc_lo, v22, s15
	v_add_co_ci_u32_e32 v31, vcc_lo, s14, v23, vcc_lo
	s_and_saveexec_b32 s13, s0
	s_cbranch_execz .LBB1_344
; %bb.343:                              ;   in Loop: Header=BB1_280 Depth=1
	v_mov_b32_e32 v6, s1
	global_store_b128 v[30:31], v[6:9], off offset:8
.LBB1_344:                              ;   in Loop: Header=BB1_280 Depth=1
	s_or_b32 exec_lo, exec_lo, s13
	v_cmp_lt_u64_e32 vcc_lo, 56, v[26:27]
	v_or_b32_e32 v6, 0, v1
	v_or_b32_e32 v33, v0, v32
	v_lshl_add_u32 v36, v28, 2, 28
	s_lshl_b64 s[6:7], s[6:7], 12
	s_delay_alu instid0(SALU_CYCLE_1) | instskip(NEXT) | instid1(VALU_DEP_1)
	v_add_co_u32 v24, s1, v24, s6
	v_add_co_ci_u32_e64 v25, s1, s7, v25, s1
	v_dual_cndmask_b32 v1, v6, v1 :: v_dual_cndmask_b32 v0, v33, v0
	v_and_b32_e32 v6, 0x1e0, v36
	s_delay_alu instid0(VALU_DEP_4) | instskip(NEXT) | instid1(VALU_DEP_4)
	v_readfirstlane_b32 s6, v24
	v_readfirstlane_b32 s7, v25
	s_delay_alu instid0(VALU_DEP_3)
	v_and_or_b32 v0, 0xffffff1f, v0, v6
	s_clause 0x3
	global_store_b128 v34, v[0:3], s[6:7]
	global_store_b128 v34, v[10:13], s[6:7] offset:16
	global_store_b128 v34, v[14:17], s[6:7] offset:32
	;; [unrolled: 1-line block ×3, first 2 shown]
	s_and_saveexec_b32 s1, s0
	s_cbranch_execz .LBB1_352
; %bb.345:                              ;   in Loop: Header=BB1_280 Depth=1
	s_clause 0x1
	global_load_b64 v[14:15], v7, s[2:3] offset:32 glc
	global_load_b64 v[0:1], v7, s[2:3] offset:40
	v_dual_mov_b32 v12, s4 :: v_dual_mov_b32 v13, s5
	s_waitcnt vmcnt(0)
	v_readfirstlane_b32 s6, v0
	v_readfirstlane_b32 s7, v1
	s_delay_alu instid0(VALU_DEP_1) | instskip(NEXT) | instid1(SALU_CYCLE_1)
	s_and_b64 s[6:7], s[6:7], s[4:5]
	s_mul_i32 s7, s7, 24
	s_mul_hi_u32 s13, s6, 24
	s_mul_i32 s6, s6, 24
	s_add_i32 s13, s13, s7
	v_add_co_u32 v10, vcc_lo, v22, s6
	v_add_co_ci_u32_e32 v11, vcc_lo, s13, v23, vcc_lo
	s_mov_b32 s6, exec_lo
	global_store_b64 v[10:11], v[14:15], off
	s_waitcnt_vscnt null, 0x0
	global_atomic_cmpswap_b64 v[2:3], v7, v[12:15], s[2:3] offset:32 glc
	s_waitcnt vmcnt(0)
	v_cmpx_ne_u64_e64 v[2:3], v[14:15]
	s_cbranch_execz .LBB1_348
; %bb.346:                              ;   in Loop: Header=BB1_280 Depth=1
	s_mov_b32 s7, 0
.LBB1_347:                              ;   Parent Loop BB1_280 Depth=1
                                        ; =>  This Inner Loop Header: Depth=2
	v_dual_mov_b32 v0, s4 :: v_dual_mov_b32 v1, s5
	s_sleep 1
	global_store_b64 v[10:11], v[2:3], off
	s_waitcnt_vscnt null, 0x0
	global_atomic_cmpswap_b64 v[0:1], v7, v[0:3], s[2:3] offset:32 glc
	s_waitcnt vmcnt(0)
	v_cmp_eq_u64_e32 vcc_lo, v[0:1], v[2:3]
	v_dual_mov_b32 v3, v1 :: v_dual_mov_b32 v2, v0
	s_or_b32 s7, vcc_lo, s7
	s_delay_alu instid0(SALU_CYCLE_1)
	s_and_not1_b32 exec_lo, exec_lo, s7
	s_cbranch_execnz .LBB1_347
.LBB1_348:                              ;   in Loop: Header=BB1_280 Depth=1
	s_or_b32 exec_lo, exec_lo, s6
	global_load_b64 v[0:1], v7, s[2:3] offset:16
	s_mov_b32 s7, exec_lo
	s_mov_b32 s6, exec_lo
	v_mbcnt_lo_u32_b32 v2, s7, 0
	s_delay_alu instid0(VALU_DEP_1)
	v_cmpx_eq_u32_e32 0, v2
	s_cbranch_execz .LBB1_350
; %bb.349:                              ;   in Loop: Header=BB1_280 Depth=1
	s_bcnt1_i32_b32 s7, s7
	s_delay_alu instid0(SALU_CYCLE_1)
	v_mov_b32_e32 v6, s7
	s_waitcnt vmcnt(0)
	global_atomic_add_u64 v[0:1], v[6:7], off offset:8
.LBB1_350:                              ;   in Loop: Header=BB1_280 Depth=1
	s_or_b32 exec_lo, exec_lo, s6
	s_waitcnt vmcnt(0)
	global_load_b64 v[2:3], v[0:1], off offset:16
	s_waitcnt vmcnt(0)
	v_cmp_eq_u64_e32 vcc_lo, 0, v[2:3]
	s_cbranch_vccnz .LBB1_352
; %bb.351:                              ;   in Loop: Header=BB1_280 Depth=1
	global_load_b32 v6, v[0:1], off offset:24
	s_waitcnt vmcnt(0)
	v_and_b32_e32 v0, 0xffffff, v6
	s_waitcnt_vscnt null, 0x0
	global_store_b64 v[2:3], v[6:7], off
	v_readfirstlane_b32 m0, v0
	s_sendmsg sendmsg(MSG_INTERRUPT)
.LBB1_352:                              ;   in Loop: Header=BB1_280 Depth=1
	s_or_b32 exec_lo, exec_lo, s1
	v_add_co_u32 v0, vcc_lo, v24, v34
	v_add_co_ci_u32_e32 v1, vcc_lo, 0, v25, vcc_lo
	s_branch .LBB1_356
	.p2align	6
.LBB1_353:                              ;   in Loop: Header=BB1_356 Depth=2
	s_or_b32 exec_lo, exec_lo, s1
	s_delay_alu instid0(VALU_DEP_1) | instskip(NEXT) | instid1(VALU_DEP_1)
	v_readfirstlane_b32 s1, v2
	s_cmp_eq_u32 s1, 0
	s_cbranch_scc1 .LBB1_355
; %bb.354:                              ;   in Loop: Header=BB1_356 Depth=2
	s_sleep 1
	s_cbranch_execnz .LBB1_356
	s_branch .LBB1_358
	.p2align	6
.LBB1_355:                              ;   in Loop: Header=BB1_280 Depth=1
	s_branch .LBB1_358
.LBB1_356:                              ;   Parent Loop BB1_280 Depth=1
                                        ; =>  This Inner Loop Header: Depth=2
	v_mov_b32_e32 v2, 1
	s_and_saveexec_b32 s1, s0
	s_cbranch_execz .LBB1_353
; %bb.357:                              ;   in Loop: Header=BB1_356 Depth=2
	global_load_b32 v2, v[30:31], off offset:20 glc
	s_waitcnt vmcnt(0)
	buffer_gl1_inv
	buffer_gl0_inv
	v_and_b32_e32 v2, 1, v2
	s_branch .LBB1_353
.LBB1_358:                              ;   in Loop: Header=BB1_280 Depth=1
	global_load_b128 v[0:3], v[0:1], off
	s_and_saveexec_b32 s1, s0
	s_cbranch_execz .LBB1_279
; %bb.359:                              ;   in Loop: Header=BB1_280 Depth=1
	s_clause 0x2
	global_load_b64 v[2:3], v7, s[2:3] offset:40
	global_load_b64 v[14:15], v7, s[2:3] offset:24 glc
	global_load_b64 v[12:13], v7, s[2:3]
	s_waitcnt vmcnt(2)
	v_add_co_u32 v6, vcc_lo, v2, 1
	v_add_co_ci_u32_e32 v16, vcc_lo, 0, v3, vcc_lo
	s_delay_alu instid0(VALU_DEP_2) | instskip(NEXT) | instid1(VALU_DEP_2)
	v_add_co_u32 v10, vcc_lo, v6, s4
	v_add_co_ci_u32_e32 v11, vcc_lo, s5, v16, vcc_lo
	s_delay_alu instid0(VALU_DEP_1) | instskip(SKIP_1) | instid1(VALU_DEP_1)
	v_cmp_eq_u64_e32 vcc_lo, 0, v[10:11]
	v_dual_cndmask_b32 v11, v11, v16 :: v_dual_cndmask_b32 v10, v10, v6
	v_and_b32_e32 v3, v11, v3
	s_delay_alu instid0(VALU_DEP_2) | instskip(NEXT) | instid1(VALU_DEP_1)
	v_and_b32_e32 v2, v10, v2
	v_mul_hi_u32 v6, v2, 24
	v_mul_lo_u32 v2, v2, 24
	s_waitcnt vmcnt(0)
	s_delay_alu instid0(VALU_DEP_1) | instskip(SKIP_2) | instid1(VALU_DEP_1)
	v_add_co_u32 v2, vcc_lo, v12, v2
	v_mov_b32_e32 v12, v14
	v_mul_lo_u32 v3, v3, 24
	v_add_nc_u32_e32 v3, v6, v3
	s_delay_alu instid0(VALU_DEP_1)
	v_add_co_ci_u32_e32 v3, vcc_lo, v13, v3, vcc_lo
	v_mov_b32_e32 v13, v15
	global_store_b64 v[2:3], v[14:15], off
	s_waitcnt_vscnt null, 0x0
	global_atomic_cmpswap_b64 v[12:13], v7, v[10:13], s[2:3] offset:24 glc
	s_waitcnt vmcnt(0)
	v_cmp_ne_u64_e32 vcc_lo, v[12:13], v[14:15]
	s_and_b32 exec_lo, exec_lo, vcc_lo
	s_cbranch_execz .LBB1_279
; %bb.360:                              ;   in Loop: Header=BB1_280 Depth=1
	s_mov_b32 s0, 0
.LBB1_361:                              ;   Parent Loop BB1_280 Depth=1
                                        ; =>  This Inner Loop Header: Depth=2
	s_sleep 1
	global_store_b64 v[2:3], v[12:13], off
	s_waitcnt_vscnt null, 0x0
	global_atomic_cmpswap_b64 v[14:15], v7, v[10:13], s[2:3] offset:24 glc
	s_waitcnt vmcnt(0)
	v_cmp_eq_u64_e32 vcc_lo, v[14:15], v[12:13]
	v_dual_mov_b32 v12, v14 :: v_dual_mov_b32 v13, v15
	s_or_b32 s0, vcc_lo, s0
	s_delay_alu instid0(SALU_CYCLE_1)
	s_and_not1_b32 exec_lo, exec_lo, s0
	s_cbranch_execnz .LBB1_361
	s_branch .LBB1_279
.LBB1_362:
	s_or_b32 exec_lo, exec_lo, s11
                                        ; implicit-def: $vgpr34
                                        ; implicit-def: $vgpr35
.LBB1_363:
	s_and_not1_saveexec_b32 s1, s10
	s_cbranch_execz .LBB1_391
; %bb.364:
	v_readfirstlane_b32 s0, v35
	v_mov_b32_e32 v8, 0
	v_mov_b32_e32 v9, 0
	s_delay_alu instid0(VALU_DEP_3) | instskip(NEXT) | instid1(VALU_DEP_1)
	v_cmp_eq_u32_e64 s0, s0, v35
	s_and_saveexec_b32 s4, s0
	s_cbranch_execz .LBB1_370
; %bb.365:
	s_waitcnt vmcnt(0)
	v_mov_b32_e32 v2, 0
	s_mov_b32 s5, exec_lo
	global_load_b64 v[5:6], v2, s[2:3] offset:24 glc
	s_waitcnt vmcnt(0)
	buffer_gl1_inv
	buffer_gl0_inv
	s_clause 0x1
	global_load_b64 v[3:4], v2, s[2:3] offset:40
	global_load_b64 v[7:8], v2, s[2:3]
	s_waitcnt vmcnt(1)
	v_and_b32_e32 v3, v3, v5
	v_and_b32_e32 v4, v4, v6
	s_delay_alu instid0(VALU_DEP_2) | instskip(NEXT) | instid1(VALU_DEP_2)
	v_mul_hi_u32 v9, v3, 24
	v_mul_lo_u32 v4, v4, 24
	v_mul_lo_u32 v3, v3, 24
	s_delay_alu instid0(VALU_DEP_2) | instskip(SKIP_1) | instid1(VALU_DEP_2)
	v_add_nc_u32_e32 v4, v9, v4
	s_waitcnt vmcnt(0)
	v_add_co_u32 v3, vcc_lo, v7, v3
	s_delay_alu instid0(VALU_DEP_2)
	v_add_co_ci_u32_e32 v4, vcc_lo, v8, v4, vcc_lo
	global_load_b64 v[3:4], v[3:4], off glc
	s_waitcnt vmcnt(0)
	global_atomic_cmpswap_b64 v[8:9], v2, v[3:6], s[2:3] offset:24 glc
	s_waitcnt vmcnt(0)
	buffer_gl1_inv
	buffer_gl0_inv
	v_cmpx_ne_u64_e64 v[8:9], v[5:6]
	s_cbranch_execz .LBB1_369
; %bb.366:
	s_mov_b32 s6, 0
	.p2align	6
.LBB1_367:                              ; =>This Inner Loop Header: Depth=1
	s_sleep 1
	s_clause 0x1
	global_load_b64 v[3:4], v2, s[2:3] offset:40
	global_load_b64 v[10:11], v2, s[2:3]
	v_dual_mov_b32 v5, v8 :: v_dual_mov_b32 v6, v9
	s_waitcnt vmcnt(1)
	s_delay_alu instid0(VALU_DEP_1) | instskip(NEXT) | instid1(VALU_DEP_2)
	v_and_b32_e32 v3, v3, v5
	v_and_b32_e32 v4, v4, v6
	s_waitcnt vmcnt(0)
	s_delay_alu instid0(VALU_DEP_2) | instskip(NEXT) | instid1(VALU_DEP_1)
	v_mad_u64_u32 v[7:8], null, v3, 24, v[10:11]
	v_mov_b32_e32 v3, v8
	s_delay_alu instid0(VALU_DEP_1)
	v_mad_u64_u32 v[8:9], null, v4, 24, v[3:4]
	global_load_b64 v[3:4], v[7:8], off glc
	s_waitcnt vmcnt(0)
	global_atomic_cmpswap_b64 v[8:9], v2, v[3:6], s[2:3] offset:24 glc
	s_waitcnt vmcnt(0)
	buffer_gl1_inv
	buffer_gl0_inv
	v_cmp_eq_u64_e32 vcc_lo, v[8:9], v[5:6]
	s_or_b32 s6, vcc_lo, s6
	s_delay_alu instid0(SALU_CYCLE_1)
	s_and_not1_b32 exec_lo, exec_lo, s6
	s_cbranch_execnz .LBB1_367
; %bb.368:
	s_or_b32 exec_lo, exec_lo, s6
.LBB1_369:
	s_delay_alu instid0(SALU_CYCLE_1)
	s_or_b32 exec_lo, exec_lo, s5
.LBB1_370:
	s_delay_alu instid0(SALU_CYCLE_1)
	s_or_b32 exec_lo, exec_lo, s4
	s_waitcnt vmcnt(0)
	v_mov_b32_e32 v2, 0
	v_readfirstlane_b32 s4, v8
	v_readfirstlane_b32 s5, v9
	s_mov_b32 s10, exec_lo
	s_clause 0x1
	global_load_b64 v[10:11], v2, s[2:3] offset:40
	global_load_b128 v[4:7], v2, s[2:3]
	s_waitcnt vmcnt(1)
	v_readfirstlane_b32 s6, v10
	v_readfirstlane_b32 s7, v11
	s_delay_alu instid0(VALU_DEP_1) | instskip(NEXT) | instid1(SALU_CYCLE_1)
	s_and_b64 s[6:7], s[4:5], s[6:7]
	s_mul_i32 s11, s7, 24
	s_mul_hi_u32 s12, s6, 24
	s_mul_i32 s13, s6, 24
	s_add_i32 s12, s12, s11
	s_waitcnt vmcnt(0)
	v_add_co_u32 v8, vcc_lo, v4, s13
	v_add_co_ci_u32_e32 v9, vcc_lo, s12, v5, vcc_lo
	s_and_saveexec_b32 s11, s0
	s_cbranch_execz .LBB1_372
; %bb.371:
	v_dual_mov_b32 v10, s10 :: v_dual_mov_b32 v11, v2
	v_dual_mov_b32 v12, 2 :: v_dual_mov_b32 v13, 1
	global_store_b128 v[8:9], v[10:13], off offset:8
.LBB1_372:
	s_or_b32 exec_lo, exec_lo, s11
	s_lshl_b64 s[6:7], s[6:7], 12
	s_mov_b32 s12, 0
	v_add_co_u32 v6, vcc_lo, v6, s6
	v_add_co_ci_u32_e32 v7, vcc_lo, s7, v7, vcc_lo
	s_mov_b32 s13, s12
	s_delay_alu instid0(VALU_DEP_2)
	v_readfirstlane_b32 s6, v6
	v_add_co_u32 v6, vcc_lo, v6, v34
	s_mov_b32 s14, s12
	s_mov_b32 s15, s12
	v_and_or_b32 v0, 0xffffff1f, v0, 32
	v_dual_mov_b32 v3, v2 :: v_dual_mov_b32 v10, s12
	v_readfirstlane_b32 s7, v7
	v_add_co_ci_u32_e32 v7, vcc_lo, 0, v7, vcc_lo
	v_dual_mov_b32 v11, s13 :: v_dual_mov_b32 v12, s14
	v_mov_b32_e32 v13, s15
	s_clause 0x3
	global_store_b128 v34, v[0:3], s[6:7]
	global_store_b128 v34, v[10:13], s[6:7] offset:16
	global_store_b128 v34, v[10:13], s[6:7] offset:32
	;; [unrolled: 1-line block ×3, first 2 shown]
	s_and_saveexec_b32 s6, s0
	s_cbranch_execz .LBB1_380
; %bb.373:
	v_dual_mov_b32 v10, 0 :: v_dual_mov_b32 v11, s4
	v_mov_b32_e32 v12, s5
	s_clause 0x1
	global_load_b64 v[13:14], v10, s[2:3] offset:32 glc
	global_load_b64 v[0:1], v10, s[2:3] offset:40
	s_waitcnt vmcnt(0)
	v_readfirstlane_b32 s10, v0
	v_readfirstlane_b32 s11, v1
	s_delay_alu instid0(VALU_DEP_1) | instskip(NEXT) | instid1(SALU_CYCLE_1)
	s_and_b64 s[10:11], s[10:11], s[4:5]
	s_mul_i32 s7, s11, 24
	s_mul_hi_u32 s11, s10, 24
	s_mul_i32 s10, s10, 24
	s_add_i32 s11, s11, s7
	v_add_co_u32 v4, vcc_lo, v4, s10
	v_add_co_ci_u32_e32 v5, vcc_lo, s11, v5, vcc_lo
	s_mov_b32 s7, exec_lo
	global_store_b64 v[4:5], v[13:14], off
	s_waitcnt_vscnt null, 0x0
	global_atomic_cmpswap_b64 v[2:3], v10, v[11:14], s[2:3] offset:32 glc
	s_waitcnt vmcnt(0)
	v_cmpx_ne_u64_e64 v[2:3], v[13:14]
	s_cbranch_execz .LBB1_376
; %bb.374:
	s_mov_b32 s10, 0
.LBB1_375:                              ; =>This Inner Loop Header: Depth=1
	v_dual_mov_b32 v0, s4 :: v_dual_mov_b32 v1, s5
	s_sleep 1
	global_store_b64 v[4:5], v[2:3], off
	s_waitcnt_vscnt null, 0x0
	global_atomic_cmpswap_b64 v[0:1], v10, v[0:3], s[2:3] offset:32 glc
	s_waitcnt vmcnt(0)
	v_cmp_eq_u64_e32 vcc_lo, v[0:1], v[2:3]
	v_dual_mov_b32 v3, v1 :: v_dual_mov_b32 v2, v0
	s_or_b32 s10, vcc_lo, s10
	s_delay_alu instid0(SALU_CYCLE_1)
	s_and_not1_b32 exec_lo, exec_lo, s10
	s_cbranch_execnz .LBB1_375
.LBB1_376:
	s_or_b32 exec_lo, exec_lo, s7
	v_mov_b32_e32 v3, 0
	s_mov_b32 s10, exec_lo
	s_mov_b32 s7, exec_lo
	v_mbcnt_lo_u32_b32 v2, s10, 0
	global_load_b64 v[0:1], v3, s[2:3] offset:16
	v_cmpx_eq_u32_e32 0, v2
	s_cbranch_execz .LBB1_378
; %bb.377:
	s_bcnt1_i32_b32 s10, s10
	s_delay_alu instid0(SALU_CYCLE_1)
	v_mov_b32_e32 v2, s10
	s_waitcnt vmcnt(0)
	global_atomic_add_u64 v[0:1], v[2:3], off offset:8
.LBB1_378:
	s_or_b32 exec_lo, exec_lo, s7
	s_waitcnt vmcnt(0)
	global_load_b64 v[2:3], v[0:1], off offset:16
	s_waitcnt vmcnt(0)
	v_cmp_eq_u64_e32 vcc_lo, 0, v[2:3]
	s_cbranch_vccnz .LBB1_380
; %bb.379:
	global_load_b32 v0, v[0:1], off offset:24
	s_waitcnt vmcnt(0)
	v_dual_mov_b32 v1, 0 :: v_dual_and_b32 v4, 0xffffff, v0
	s_waitcnt_vscnt null, 0x0
	global_store_b64 v[2:3], v[0:1], off
	v_readfirstlane_b32 m0, v4
	s_sendmsg sendmsg(MSG_INTERRUPT)
.LBB1_380:
	s_or_b32 exec_lo, exec_lo, s6
	s_branch .LBB1_384
	.p2align	6
.LBB1_381:                              ;   in Loop: Header=BB1_384 Depth=1
	s_or_b32 exec_lo, exec_lo, s6
	s_delay_alu instid0(VALU_DEP_1) | instskip(NEXT) | instid1(VALU_DEP_1)
	v_readfirstlane_b32 s6, v0
	s_cmp_eq_u32 s6, 0
	s_cbranch_scc1 .LBB1_383
; %bb.382:                              ;   in Loop: Header=BB1_384 Depth=1
	s_sleep 1
	s_cbranch_execnz .LBB1_384
	s_branch .LBB1_386
	.p2align	6
.LBB1_383:
	s_branch .LBB1_386
.LBB1_384:                              ; =>This Inner Loop Header: Depth=1
	v_mov_b32_e32 v0, 1
	s_and_saveexec_b32 s6, s0
	s_cbranch_execz .LBB1_381
; %bb.385:                              ;   in Loop: Header=BB1_384 Depth=1
	global_load_b32 v0, v[8:9], off offset:20 glc
	s_waitcnt vmcnt(0)
	buffer_gl1_inv
	buffer_gl0_inv
	v_and_b32_e32 v0, 1, v0
	s_branch .LBB1_381
.LBB1_386:
	global_load_b64 v[0:1], v[6:7], off
	s_and_saveexec_b32 s6, s0
	s_cbranch_execz .LBB1_390
; %bb.387:
	v_mov_b32_e32 v8, 0
	s_clause 0x2
	global_load_b64 v[4:5], v8, s[2:3] offset:40
	global_load_b64 v[9:10], v8, s[2:3] offset:24 glc
	global_load_b64 v[6:7], v8, s[2:3]
	s_waitcnt vmcnt(2)
	v_add_co_u32 v11, vcc_lo, v4, 1
	v_add_co_ci_u32_e32 v12, vcc_lo, 0, v5, vcc_lo
	s_delay_alu instid0(VALU_DEP_2) | instskip(NEXT) | instid1(VALU_DEP_2)
	v_add_co_u32 v2, vcc_lo, v11, s4
	v_add_co_ci_u32_e32 v3, vcc_lo, s5, v12, vcc_lo
	s_delay_alu instid0(VALU_DEP_1) | instskip(SKIP_1) | instid1(VALU_DEP_1)
	v_cmp_eq_u64_e32 vcc_lo, 0, v[2:3]
	v_dual_cndmask_b32 v3, v3, v12 :: v_dual_cndmask_b32 v2, v2, v11
	v_and_b32_e32 v5, v3, v5
	s_delay_alu instid0(VALU_DEP_2) | instskip(NEXT) | instid1(VALU_DEP_2)
	v_and_b32_e32 v4, v2, v4
	v_mul_lo_u32 v5, v5, 24
	s_delay_alu instid0(VALU_DEP_2) | instskip(SKIP_1) | instid1(VALU_DEP_2)
	v_mul_hi_u32 v11, v4, 24
	v_mul_lo_u32 v4, v4, 24
	v_add_nc_u32_e32 v5, v11, v5
	s_waitcnt vmcnt(0)
	s_delay_alu instid0(VALU_DEP_2) | instskip(SKIP_1) | instid1(VALU_DEP_3)
	v_add_co_u32 v6, vcc_lo, v6, v4
	v_mov_b32_e32 v4, v9
	v_add_co_ci_u32_e32 v7, vcc_lo, v7, v5, vcc_lo
	v_mov_b32_e32 v5, v10
	global_store_b64 v[6:7], v[9:10], off
	s_waitcnt_vscnt null, 0x0
	global_atomic_cmpswap_b64 v[4:5], v8, v[2:5], s[2:3] offset:24 glc
	s_waitcnt vmcnt(0)
	v_cmp_ne_u64_e32 vcc_lo, v[4:5], v[9:10]
	s_and_b32 exec_lo, exec_lo, vcc_lo
	s_cbranch_execz .LBB1_390
; %bb.388:
	s_mov_b32 s0, 0
.LBB1_389:                              ; =>This Inner Loop Header: Depth=1
	s_sleep 1
	global_store_b64 v[6:7], v[4:5], off
	s_waitcnt_vscnt null, 0x0
	global_atomic_cmpswap_b64 v[9:10], v8, v[2:5], s[2:3] offset:24 glc
	s_waitcnt vmcnt(0)
	v_cmp_eq_u64_e32 vcc_lo, v[9:10], v[4:5]
	v_dual_mov_b32 v4, v9 :: v_dual_mov_b32 v5, v10
	s_or_b32 s0, vcc_lo, s0
	s_delay_alu instid0(SALU_CYCLE_1)
	s_and_not1_b32 exec_lo, exec_lo, s0
	s_cbranch_execnz .LBB1_389
.LBB1_390:
	s_or_b32 exec_lo, exec_lo, s6
.LBB1_391:
	s_delay_alu instid0(SALU_CYCLE_1)
	s_or_b32 exec_lo, exec_lo, s1
	s_getpc_b64 s[0:1]
	s_add_u32 s0, s0, .str.1@rel32@lo+4
	s_addc_u32 s1, s1, .str.1@rel32@hi+12
	s_getpc_b64 s[2:3]
	s_add_u32 s2, s2, .str.1@rel32@lo+32
	s_addc_u32 s3, s3, .str.1@rel32@hi+40
	s_sub_i32 s4, s2, s0
	s_getpc_b64 s[2:3]
	s_add_u32 s2, s2, __ockl_fprintf_append_string_n@rel32@lo+4
	s_addc_u32 s3, s3, __ockl_fprintf_append_string_n@rel32@hi+12
	s_ashr_i32 s5, s4, 31
	s_waitcnt vmcnt(0)
	v_dual_mov_b32 v2, s0 :: v_dual_mov_b32 v3, s1
	v_dual_mov_b32 v4, s4 :: v_dual_mov_b32 v5, s5
	v_mov_b32_e32 v6, 1
	s_swappc_b64 s[30:31], s[2:3]
	s_trap 2
	s_sendmsg_rtn_b32 s0, sendmsg(MSG_RTN_GET_DOORBELL)
	s_mov_b32 ttmp2, m0
	s_waitcnt lgkmcnt(0)
	s_and_b32 s0, s0, 0x3ff
	s_delay_alu instid0(SALU_CYCLE_1) | instskip(NEXT) | instid1(SALU_CYCLE_1)
	s_bitset1_b32 s0, 10
	s_mov_b32 m0, s0
	s_sendmsg sendmsg(MSG_INTERRUPT)
	s_mov_b32 m0, ttmp2
.LBB1_392:                              ; =>This Inner Loop Header: Depth=1
	s_sethalt 5
	s_branch .LBB1_392
.Lfunc_end1:
	.size	__assert_fail, .Lfunc_end1-__assert_fail
                                        ; -- End function
	.section	.AMDGPU.csdata,"",@progbits
; Function info:
; codeLenInByte = 16148
; NumSgprs: 36
; NumVgprs: 41
; ScratchSize: 64
; MemoryBound: 0
	.text
	.p2align	2                               ; -- Begin function _ZN12_GLOBAL__N_17runRingIm14FuncSumPostDivImE11ProtoSimpleILi2ELi2ELi0ELi1ELi0ELi0EELi0ELi0ELi1ELi0EEEviiP15ncclDevWorkColl
	.type	_ZN12_GLOBAL__N_17runRingIm14FuncSumPostDivImE11ProtoSimpleILi2ELi2ELi0ELi1ELi0ELi0EELi0ELi0ELi1ELi0EEEviiP15ncclDevWorkColl,@function
_ZN12_GLOBAL__N_17runRingIm14FuncSumPostDivImE11ProtoSimpleILi2ELi2ELi0ELi1ELi0ELi0EELi0ELi0ELi1ELi0EEEviiP15ncclDevWorkColl: ; @_ZN12_GLOBAL__N_17runRingIm14FuncSumPostDivImE11ProtoSimpleILi2ELi2ELi0ELi1ELi0ELi0EELi0ELi0ELi1ELi0EEEviiP15ncclDevWorkColl
; %bb.0:
	s_waitcnt vmcnt(0) expcnt(0) lgkmcnt(0)
	s_mov_b32 s0, s33
	s_mov_b32 s33, s32
	s_or_saveexec_b32 s1, -1
	s_clause 0x1
	scratch_store_b32 off, v41, s33 offset:4
	; meta instruction
	scratch_store_b32 off, v42, s33 offset:8
	s_mov_b32 exec_lo, s1
	v_writelane_b32 v41, s0, 11
	s_add_i32 s32, s32, 16
	scratch_store_b32 off, v40, s33         ; 4-byte Folded Spill
	v_writelane_b32 v41, s34, 0
	v_writelane_b32 v41, s35, 1
	;; [unrolled: 1-line block ×11, first 2 shown]
	s_cbranch_execnz .LBB2_1459
; %bb.1:
	flat_load_b32 v7, v[2:3]
	ds_load_b32 v6, v0
	s_mov_b32 s0, exec_lo
                                        ; implicit-def: $vgpr32_vgpr33
                                        ; implicit-def: $vgpr14_vgpr15
                                        ; implicit-def: $vgpr4_vgpr5
	s_waitcnt lgkmcnt(0)
	v_readfirstlane_b32 s25, v6
	s_waitcnt vmcnt(0)
	v_and_b32_e32 v8, 0xff, v7
	s_delay_alu instid0(VALU_DEP_1)
	v_cmpx_ne_u32_e64 v8, v6
	s_xor_b32 s0, exec_lo, s0
	s_cbranch_execz .LBB2_1461
; %bb.2:
	v_bfe_u32 v9, v7, 8, 8
	v_not_b32_e32 v8, v8
	s_mov_b32 s1, exec_lo
                                        ; implicit-def: $vgpr32_vgpr33
                                        ; implicit-def: $vgpr14_vgpr15
                                        ; implicit-def: $vgpr4_vgpr5
	s_delay_alu instid0(VALU_DEP_2)
	v_cmpx_ne_u32_e64 v9, v6
	s_xor_b32 s1, exec_lo, s1
	s_cbranch_execz .LBB2_4
; %bb.3:
	s_clause 0x1
	flat_load_b128 v[9:12], v[2:3] offset:72
	flat_load_b64 v[4:5], v[2:3] offset:96
	v_add_nc_u32_e32 v6, v6, v8
                                        ; implicit-def: $vgpr8
	s_waitcnt vmcnt(0) lgkmcnt(0)
	v_lshrrev_b64 v[32:33], 15, v[4:5]
	v_dual_mov_b32 v4, v11 :: v_dual_mov_b32 v5, v12
	s_delay_alu instid0(VALU_DEP_3) | instskip(SKIP_2) | instid1(VALU_DEP_3)
	v_ashrrev_i32_e32 v7, 31, v6
	v_mad_u64_u32 v[14:15], null, v11, v6, v[9:10]
	v_mul_lo_u32 v6, v12, v6
                                        ; implicit-def: $vgpr9
	v_mul_lo_u32 v7, v11, v7
	s_delay_alu instid0(VALU_DEP_1)
	v_add3_u32 v15, v6, v15, v7
.LBB2_4:
	s_and_not1_saveexec_b32 s1, s1
	s_cbranch_execz .LBB2_6
; %bb.5:
	s_clause 0x1
	flat_load_b128 v[10:13], v[2:3] offset:72
	flat_load_b128 v[4:7], v[2:3] offset:88
	s_waitcnt vmcnt(0) lgkmcnt(0)
	v_add_nc_u32_e32 v6, v9, v8
	s_delay_alu instid0(VALU_DEP_1) | instskip(NEXT) | instid1(VALU_DEP_1)
	v_ashrrev_i32_e32 v8, 31, v6
	v_mul_lo_u32 v8, v12, v8
	v_mad_u64_u32 v[14:15], null, v12, v6, v[10:11]
	v_mul_lo_u32 v6, v13, v6
	v_lshrrev_b32_e32 v32, 4, v7
	s_delay_alu instid0(VALU_DEP_2)
	v_add3_u32 v15, v6, v15, v8
.LBB2_6:
	s_or_b32 exec_lo, exec_lo, s1
	s_and_not1_saveexec_b32 s0, s0
	s_cbranch_execnz .LBB2_1462
.LBB2_7:
	s_or_b32 exec_lo, exec_lo, s0
	s_cbranch_execnz .LBB2_1463
.LBB2_8:
	ds_load_b64 v[6:7], v0
	s_mov_b32 s1, exec_lo
	s_waitcnt lgkmcnt(0)
	v_cmp_ne_u32_e32 vcc_lo, -1, v6
	v_cndmask_b32_e64 v36, 0, 1, vcc_lo
	v_cmp_ne_u32_e32 vcc_lo, -1, v7
	s_delay_alu instid0(VALU_DEP_2) | instskip(NEXT) | instid1(VALU_DEP_1)
	v_add_co_ci_u32_e64 v8, s0, 0, v36, vcc_lo
	v_lshlrev_b32_e32 v6, 1, v8
	s_delay_alu instid0(VALU_DEP_1)
	v_cmpx_le_i32_e64 v6, v1
	s_xor_b32 s24, exec_lo, s1
	s_cbranch_execz .LBB2_1706
; %bb.9:
	s_clause 0x3
	flat_load_b64 v[33:34], v[2:3] offset:104
	flat_load_b128 v[10:13], v[2:3] offset:16
	flat_load_u16 v7, v[2:3] offset:8
	flat_load_b32 v6, v[2:3] offset:4
	s_cbranch_execnz .LBB2_1465
; %bb.10:
	s_load_b32 s0, s[8:9], 0x0
	v_dual_mov_b32 v9, 0 :: v_dual_mov_b32 v30, 4
	s_waitcnt lgkmcnt(0)
	s_cmp_lt_u32 s12, s0
	s_cselect_b32 s0, 12, 18
	s_delay_alu instid0(SALU_CYCLE_1)
	s_add_u32 s0, s8, s0
	s_addc_u32 s1, s9, 0
	global_load_u16 v35, v9, s[0:1]
	ds_load_b32 v9, v0
	s_mov_b32 s1, exec_lo
	s_waitcnt lgkmcnt(0)
	v_readfirstlane_b32 s5, v9
	v_cmpx_ge_i32_e64 v0, v36
	s_cbranch_execz .LBB2_20
; %bb.11:
	v_cmp_le_u32_e64 s0, v8, v0
                                        ; implicit-def: $vgpr30
	s_delay_alu instid0(VALU_DEP_1) | instskip(NEXT) | instid1(SALU_CYCLE_1)
	s_and_saveexec_b32 s2, s0
	s_xor_b32 s0, exec_lo, s2
	s_cbranch_execz .LBB2_17
; %bb.12:
	v_cndmask_b32_e64 v9, 0, 1, vcc_lo
	s_mov_b32 s2, exec_lo
                                        ; implicit-def: $sgpr3
	s_delay_alu instid0(VALU_DEP_1) | instskip(NEXT) | instid1(VALU_DEP_1)
	v_sub_nc_u32_e32 v9, v1, v9
	v_cmpx_ge_u32_e64 v0, v9
	s_xor_b32 s2, exec_lo, s2
; %bb.13:
	s_mov_b32 s3, 16
                                        ; implicit-def: $vgpr8
; %bb.14:
	s_or_saveexec_b32 s2, s2
	v_mov_b32_e32 v30, s3
	s_xor_b32 exec_lo, exec_lo, s2
; %bb.15:
	v_sub_nc_u32_e32 v8, v1, v8
	s_delay_alu instid0(VALU_DEP_1) | instskip(SKIP_1) | instid1(VALU_DEP_1)
	v_cmp_ge_i32_e32 vcc_lo, v0, v8
	v_cndmask_b32_e64 v8, 0, 1, vcc_lo
	v_lshlrev_b32_e32 v30, 5, v8
; %bb.16:
	s_or_b32 exec_lo, exec_lo, s2
.LBB2_17:
	s_and_not1_saveexec_b32 s0, s0
; %bb.18:
	v_mov_b32_e32 v30, 8
; %bb.19:
	s_or_b32 exec_lo, exec_lo, s0
.LBB2_20:
	s_delay_alu instid0(SALU_CYCLE_1) | instskip(NEXT) | instid1(VALU_DEP_1)
	s_or_b32 exec_lo, exec_lo, s1
	v_and_b32_e32 v8, 36, v30
	s_delay_alu instid0(VALU_DEP_1)
	v_cmp_ne_u32_e32 vcc_lo, 0, v8
	v_mov_b32_e32 v8, -1
	s_and_saveexec_b32 s0, vcc_lo
	s_cbranch_execz .LBB2_23
; %bb.21:
	s_cbranch_execnz .LBB2_1467
; %bb.22:
	ds_load_b32 v8, v0
.LBB2_23:
	s_or_b32 exec_lo, exec_lo, s0
	v_and_b32_e32 v9, 24, v30
	s_mov_b32 s1, exec_lo
	s_delay_alu instid0(VALU_DEP_1)
	v_cmpx_ne_u32_e32 0, v9
	s_cbranch_execz .LBB2_26
; %bb.24:
	s_cbranch_execnz .LBB2_1469
; %bb.25:
	s_waitcnt lgkmcnt(0)
	ds_load_b32 v8, v0
.LBB2_26:
	s_or_b32 exec_lo, exec_lo, s1
	s_waitcnt vmcnt(1)
	v_lshrrev_b64 v[6:7], 31, v[6:7]
	v_mov_b32_e32 v18, 0
	v_mov_b32_e32 v19, 0
                                        ; implicit-def: $vgpr16_vgpr17
                                        ; implicit-def: $vgpr86
                                        ; implicit-def: $vgpr22_vgpr23
                                        ; implicit-def: $vgpr24_vgpr25
                                        ; implicit-def: $vgpr28_vgpr29
                                        ; implicit-def: $vgpr20_vgpr21
	s_delay_alu instid0(VALU_DEP_2) | instskip(NEXT) | instid1(VALU_DEP_2)
	v_dual_mov_b32 v6, v18 :: v_dual_and_b32 v37, 3, v6
	v_mov_b32_e32 v7, v19
	s_and_saveexec_b32 s0, vcc_lo
	s_cbranch_execz .LBB2_39
; %bb.27:
	s_cbranch_execnz .LBB2_1471
; %bb.28:
	ds_load_b64 v[6:7], v0
	s_waitcnt lgkmcnt(1)
	v_ashrrev_i32_e32 v9, 31, v8
	s_mov_b32 s1, exec_lo
	s_delay_alu instid0(VALU_DEP_1) | instskip(SKIP_2) | instid1(VALU_DEP_2)
	v_lshlrev_b64 v[16:17], 3, v[8:9]
	v_and_b32_e32 v9, 0xffff, v37
	s_waitcnt lgkmcnt(0)
	v_add_co_u32 v6, vcc_lo, v6, v16
	s_delay_alu instid0(VALU_DEP_3)
	v_add_co_ci_u32_e32 v7, vcc_lo, v7, v17, vcc_lo
	flat_load_b64 v[6:7], v[6:7]
	s_waitcnt vmcnt(0) lgkmcnt(0)
	v_mad_u64_u32 v[16:17], null, 0xa8, v9, v[6:7]
	flat_load_b32 v6, v[16:17] offset:640
	v_add_co_u32 v18, vcc_lo, 0x1f8, v16
	v_add_co_ci_u32_e32 v19, vcc_lo, 0, v17, vcc_lo
                                        ; implicit-def: $vgpr16_vgpr17
	s_waitcnt vmcnt(0) lgkmcnt(0)
	v_cmpx_eq_u32_e32 1, v6
	s_cbranch_execz .LBB2_31
; %bb.29:
	flat_load_b64 v[16:17], v[18:19] offset:144
	s_waitcnt vmcnt(0) lgkmcnt(0)
	flat_load_b64 v[6:7], v[16:17]
	s_cbranch_execnz .LBB2_1479
; %bb.30:
	s_waitcnt vmcnt(0) lgkmcnt(0)
	ds_store_b64 v0, v[6:7]
	flat_load_b64 v[6:7], v[16:17] offset:8
	v_or_b32_e32 v30, 0x2000, v30
	s_waitcnt vmcnt(0) lgkmcnt(0)
	ds_store_b64 v0, v[6:7]
	flat_load_b64 v[6:7], v[16:17] offset:16
	s_waitcnt vmcnt(0) lgkmcnt(0)
	ds_store_b64 v0, v[6:7]
.LBB2_31:
	s_or_b32 exec_lo, exec_lo, s1
	flat_load_b64 v[6:7], v[18:19] offset:104
	v_and_b32_e32 v9, 32, v30
	s_mov_b32 s1, exec_lo
                                        ; implicit-def: $vgpr20_vgpr21
	s_waitcnt vmcnt(0) lgkmcnt(0)
	v_add_co_u32 v6, vcc_lo, v6, 3
	v_add_co_ci_u32_e32 v23, vcc_lo, 0, v7, vcc_lo
	s_delay_alu instid0(VALU_DEP_2)
	v_and_b32_e32 v22, -4, v6
	v_cmpx_ne_u32_e32 0, v9
	s_cbranch_execz .LBB2_33
; %bb.32:
	flat_load_b64 v[20:21], v[18:19] offset:56
	s_waitcnt vmcnt(0) lgkmcnt(0)
	s_waitcnt_vscnt null, 0x0
	flat_store_b64 v[20:21], v[22:23]
.LBB2_33:
	s_or_b32 exec_lo, exec_lo, s1
	v_dual_mov_b32 v6, 0 :: v_dual_and_b32 v9, 4, v30
	v_mov_b32_e32 v7, 0
	s_mov_b32 s1, exec_lo
                                        ; implicit-def: $vgpr86
                                        ; implicit-def: $vgpr24_vgpr25
                                        ; implicit-def: $vgpr28_vgpr29
	s_delay_alu instid0(VALU_DEP_2)
	v_cmpx_ne_u32_e32 0, v9
	s_cbranch_execz .LBB2_38
; %bb.34:
	v_and_b32_e32 v6, 0x800, v30
	s_mov_b32 s2, exec_lo
	s_delay_alu instid0(VALU_DEP_1)
	v_cmpx_eq_u32_e32 0, v6
	s_cbranch_execz .LBB2_37
; %bb.35:
	s_cbranch_execnz .LBB2_1481
; %bb.36:
	ds_store_b64 v0, v[18:19]
.LBB2_37:
	s_or_b32 exec_lo, exec_lo, s2
	flat_load_b64 v[20:21], v[18:19] offset:48
	v_or_b32_e32 v26, 0x100, v30
	s_waitcnt vmcnt(0) lgkmcnt(0)
	flat_load_b64 v[28:29], v[20:21] glc
	s_clause 0x2
	flat_load_b32 v9, v[18:19] offset:72
	flat_load_b64 v[6:7], v[18:19] offset:96
	flat_load_b64 v[24:25], v[18:19] offset:16
	s_waitcnt vmcnt(2) lgkmcnt(2)
	v_ashrrev_i32_e32 v86, 3, v9
	s_waitcnt vmcnt(1) lgkmcnt(1)
	v_cmp_eq_u64_e32 vcc_lo, 0, v[6:7]
	v_cndmask_b32_e32 v30, v26, v30, vcc_lo
.LBB2_38:
	s_or_b32 exec_lo, exec_lo, s1
.LBB2_39:
	s_delay_alu instid0(SALU_CYCLE_1) | instskip(NEXT) | instid1(VALU_DEP_1)
	s_or_b32 exec_lo, exec_lo, s0
	v_and_b32_e32 v9, 24, v30
	s_mov_b32 s0, exec_lo
                                        ; implicit-def: $vgpr26_vgpr27
	s_delay_alu instid0(VALU_DEP_1)
	v_cmpx_ne_u32_e32 0, v9
	s_cbranch_execz .LBB2_49
; %bb.40:
	s_cbranch_execnz .LBB2_1473
; %bb.41:
	ds_load_b64 v[6:7], v0
	s_waitcnt lgkmcnt(1)
	v_ashrrev_i32_e32 v9, 31, v8
	v_or_b32_e32 v22, 0x100, v30
	s_mov_b32 s1, exec_lo
                                        ; implicit-def: $vgpr26_vgpr27
	s_delay_alu instid0(VALU_DEP_2) | instskip(SKIP_1) | instid1(VALU_DEP_1)
	v_lshlrev_b64 v[8:9], 3, v[8:9]
	s_waitcnt lgkmcnt(0)
	v_add_co_u32 v6, vcc_lo, v6, v8
	s_delay_alu instid0(VALU_DEP_2)
	v_add_co_ci_u32_e32 v7, vcc_lo, v7, v9, vcc_lo
	v_and_b32_e32 v8, 0xffff, v37
	flat_load_b64 v[6:7], v[6:7]
	s_waitcnt vmcnt(0) lgkmcnt(0)
	v_mad_u64_u32 v[18:19], null, 0xa8, v8, v[6:7]
	flat_load_b128 v[6:9], v[18:19] offset:96
	s_waitcnt vmcnt(0) lgkmcnt(0)
	v_cmp_eq_u64_e32 vcc_lo, 0, v[6:7]
	v_cndmask_b32_e32 v30, v22, v30, vcc_lo
	s_delay_alu instid0(VALU_DEP_1) | instskip(NEXT) | instid1(VALU_DEP_1)
	v_and_b32_e32 v22, 16, v30
	v_cmpx_ne_u32_e32 0, v22
; %bb.42:
	s_clause 0x2
	flat_load_b64 v[26:27], v[18:19] offset:120
	flat_load_b64 v[20:21], v[18:19] offset:48
	;; [unrolled: 1-line block ×3, first 2 shown]
; %bb.43:
	s_or_b32 exec_lo, exec_lo, s1
	v_and_b32_e32 v22, 8, v30
	s_mov_b32 s1, exec_lo
	s_delay_alu instid0(VALU_DEP_1)
	v_cmpx_ne_u32_e32 0, v22
	s_cbranch_execz .LBB2_48
; %bb.44:
	s_waitcnt vmcnt(1) lgkmcnt(1)
	v_and_b32_e32 v20, 0x800, v30
	s_mov_b32 s2, exec_lo
	s_delay_alu instid0(VALU_DEP_1)
	v_cmpx_eq_u32_e32 0, v20
	s_cbranch_execz .LBB2_47
; %bb.45:
	s_cbranch_execnz .LBB2_1483
; %bb.46:
	ds_store_b64 v0, v[18:19]
.LBB2_47:
	s_or_b32 exec_lo, exec_lo, s2
	flat_load_b64 v[20:21], v[18:19] offset:56
	s_waitcnt vmcnt(0) lgkmcnt(0)
	flat_load_b64 v[28:29], v[20:21] glc
	s_clause 0x1
	flat_load_b32 v22, v[18:19] offset:72
	flat_load_b64 v[24:25], v[18:19] offset:16
	s_waitcnt vmcnt(1) lgkmcnt(1)
	v_ashrrev_i32_e32 v86, 3, v22
.LBB2_48:
	s_or_b32 exec_lo, exec_lo, s1
	v_add_co_u32 v8, vcc_lo, v8, 3
	v_add_co_ci_u32_e32 v23, vcc_lo, 0, v9, vcc_lo
	s_delay_alu instid0(VALU_DEP_2)
	v_and_b32_e32 v22, -4, v8
.LBB2_49:
	s_or_b32 exec_lo, exec_lo, s0
	v_cmp_eq_u32_e64 s0, 0, v0
	s_delay_alu instid0(VALU_DEP_1)
	s_and_saveexec_b32 s1, s0
	s_cbranch_execz .LBB2_52
; %bb.50:
	s_waitcnt lgkmcnt(0)
	flat_load_b64 v[8:9], v[2:3] offset:32
	ds_store_2addr_b64 v0, v[12:13], v[10:11] offset1:1
	s_cbranch_execnz .LBB2_1475
; %bb.51:
	s_waitcnt vmcnt(0) lgkmcnt(1)
	ds_store_b64 v0, v[8:9]
	ds_store_b64 v0, v[33:34]
.LBB2_52:
	s_or_b32 exec_lo, exec_lo, s1
	s_waitcnt vmcnt(0)
	v_dual_mov_b32 v12, 0 :: v_dual_and_b32 v71, 0xffff, v35
	v_mov_b32_e32 v13, 0
	s_mov_b32 s2, exec_lo
	v_cmpx_lt_i64_e32 0, v[4:5]
	s_cbranch_execz .LBB2_1454
; %bb.53:
	s_waitcnt lgkmcnt(0)
	flat_load_b32 v8, v[2:3] offset:4
	v_dual_mov_b32 v3, 0 :: v_dual_and_b32 v2, 31, v31
	s_ashr_i32 s27, s25, 31
	s_add_u32 s28, s25, -1
	s_addc_u32 s29, s27, -1
	s_not_b32 s3, s25
	v_cmp_ge_i32_e32 vcc_lo, v0, v1
	v_cmp_eq_u32_e64 s1, 0, v2
	s_cmp_gt_i32 s25, 0
	s_cselect_b32 s6, s3, -1
	s_cbranch_execnz .LBB2_1477
; %bb.54:
	v_ashrrev_i32_e32 v9, 31, v0
                                        ; implicit-def: $vgpr42 : SGPR spill to VGPR lane
	s_mov_b32 s3, 0
	v_writelane_b32 v42, s2, 0
	v_lshrrev_b32_e32 v96, 5, v1
	v_and_b32_e32 v2, 0x7ffffc0, v32
	v_lshrrev_b32_e32 v9, 27, v9
	s_add_i32 s19, s25, s25
	v_writelane_b32 v42, s2, 1
	v_lshlrev_b32_e32 v101, 8, v96
	s_add_i32 s30, s6, s19
	v_add_nc_u32_e32 v9, v0, v9
	s_ashr_i32 s31, s30, 31
	v_writelane_b32 v42, s3, 2
	s_ashr_i32 s3, s5, 31
	v_add_nc_u32_e32 v113, 0xffffff00, v101
	v_dual_mov_b32 v129, 1 :: v_dual_and_b32 v10, 0xffffffe0, v9
	s_lshr_b32 s3, s3, 29
	v_cmp_eq_u64_e64 s6, 0, v[26:27]
	s_add_i32 s5, s5, s3
	s_delay_alu instid0(VALU_DEP_2)
	v_sub_nc_u32_e32 v98, v0, v10
	s_ashr_i32 s3, s5, 6
	v_lshl_add_u32 v10, v96, 10, 0xfffffc00
	s_lshr_b32 s5, s3, 28
	v_ashrrev_i32_e32 v116, 31, v113
	s_add_i32 s3, s3, s5
	v_cmp_lt_i32_e64 s5, v98, v36
	v_cmp_le_i32_e64 s21, v98, v36
	v_mov_b32_e32 v36, 0
	v_ashrrev_i32_e32 v97, 5, v9
	v_mov_b32_e32 v37, 0
	s_delay_alu instid0(VALU_DEP_3) | instskip(SKIP_1) | instid1(VALU_DEP_4)
	v_dual_mov_b32 v12, v36 :: v_dual_lshlrev_b32 v99, 9, v96
	v_mov_b32_e32 v39, v3
	v_dual_mov_b32 v38, v2 :: v_dual_lshlrev_b32 v9, 10, v97
	s_delay_alu instid0(VALU_DEP_3) | instskip(SKIP_1) | instid1(VALU_DEP_3)
	v_add_nc_u32_e32 v100, 0xfffffe00, v99
	v_add_co_u32 v102, s7, 0x400, v10
	v_lshl_add_u32 v34, v98, 4, v9
	v_ashrrev_i32_e32 v9, 31, v10
	s_delay_alu instid0(VALU_DEP_4)
	v_ashrrev_i32_e32 v112, 31, v100
	s_waitcnt vmcnt(0) lgkmcnt(0)
	v_dual_mov_b32 v13, v37 :: v_dual_and_b32 v8, 1, v8
	s_ashr_i32 s16, s3, 4
	v_add_co_ci_u32_e64 v103, s7, 0, v9, s7
	v_add_co_u32 v114, s7, 0x200, v100
	s_delay_alu instid0(VALU_DEP_1) | instskip(SKIP_1) | instid1(VALU_DEP_1)
	v_add_co_ci_u32_e64 v115, s7, 0, v112, s7
	v_add_co_u32 v117, s7, 0x100, v113
	v_add_co_ci_u32_e64 v118, s7, 0, v116, s7
	v_cmp_eq_u32_e64 s7, 1, v8
	s_cmp_gt_i32 s25, 2
	v_cmp_gt_i32_e64 s13, 1, v98
	s_cselect_b32 s34, -1, 0
	v_lshlrev_b32_e32 v0, 4, v0
	s_add_i32 s3, s25, 1
	s_xor_b32 s35, s7, -1
	v_mad_i64_i32 v[32:33], null, v2, s25, 0
	s_cmp_le_i32 s25, s3
	v_cmp_ne_u64_e64 s11, 0, v[26:27]
	s_cselect_b32 s10, s25, 0
	v_ashrrev_i32_e32 v87, 31, v86
	v_cmp_eq_u32_e64 s2, 32, v1
	v_cmp_ne_u32_e64 s38, 32, v1
	v_cmp_ne_u32_e64 s4, v71, v1
	v_ashrrev_i32_e32 v35, 31, v34
	v_sub_nc_u32_e32 v119, 0, v97
	v_ashrrev_i32_e32 v128, 31, v0
	v_writelane_b32 v42, s13, 3
	s_sub_i32 s18, s3, s10
	s_add_i32 s22, s25, -2
	s_ashr_i32 s23, s18, 31
	s_xor_b32 s14, vcc_lo, -1
	s_brev_b32 s17, 1
	s_sub_i32 s37, 0, s25
	s_mov_b32 s36, 0
	v_writelane_b32 v42, s5, 4
.LBB2_55:                               ; =>This Loop Header: Depth=1
                                        ;     Child Loop BB2_63 Depth 2
                                        ;       Child Loop BB2_72 Depth 3
                                        ;       Child Loop BB2_101 Depth 3
	;; [unrolled: 1-line block ×9, first 2 shown]
                                        ;     Child Loop BB2_229 Depth 2
                                        ;       Child Loop BB2_235 Depth 3
                                        ;       Child Loop BB2_264 Depth 3
                                        ;       Child Loop BB2_291 Depth 3
                                        ;     Child Loop BB2_312 Depth 2
                                        ;       Child Loop BB2_314 Depth 3
                                        ;         Child Loop BB2_323 Depth 4
                                        ;         Child Loop BB2_355 Depth 4
	;; [unrolled: 1-line block ×9, first 2 shown]
                                        ;       Child Loop BB2_483 Depth 3
                                        ;         Child Loop BB2_489 Depth 4
                                        ;         Child Loop BB2_519 Depth 4
	;; [unrolled: 1-line block ×3, first 2 shown]
                                        ;     Child Loop BB2_569 Depth 2
                                        ;       Child Loop BB2_578 Depth 3
                                        ;       Child Loop BB2_610 Depth 3
	;; [unrolled: 1-line block ×4, first 2 shown]
                                        ;         Child Loop BB2_668 Depth 4
                                        ;       Child Loop BB2_680 Depth 3
                                        ;         Child Loop BB2_681 Depth 4
                                        ;       Child Loop BB2_697 Depth 3
	;; [unrolled: 2-line block ×4, first 2 shown]
                                        ;       Child Loop BB2_744 Depth 3
                                        ;       Child Loop BB2_759 Depth 3
	;; [unrolled: 1-line block ×5, first 2 shown]
                                        ;     Child Loop BB2_829 Depth 2
                                        ;       Child Loop BB2_835 Depth 3
                                        ;       Child Loop BB2_867 Depth 3
                                        ;       Child Loop BB2_894 Depth 3
                                        ;     Child Loop BB2_915 Depth 2
                                        ;       Child Loop BB2_917 Depth 3
                                        ;         Child Loop BB2_926 Depth 4
                                        ;         Child Loop BB2_956 Depth 4
	;; [unrolled: 1-line block ×4, first 2 shown]
                                        ;           Child Loop BB2_1005 Depth 5
                                        ;         Child Loop BB2_1012 Depth 4
                                        ;           Child Loop BB2_1013 Depth 5
                                        ;         Child Loop BB2_1024 Depth 4
	;; [unrolled: 2-line block ×4, first 2 shown]
                                        ;         Child Loop BB2_1053 Depth 4
                                        ;         Child Loop BB2_1063 Depth 4
	;; [unrolled: 1-line block ×5, first 2 shown]
                                        ;       Child Loop BB2_1128 Depth 3
                                        ;         Child Loop BB2_1134 Depth 4
                                        ;         Child Loop BB2_1164 Depth 4
	;; [unrolled: 1-line block ×3, first 2 shown]
                                        ;     Child Loop BB2_1213 Depth 2
                                        ;       Child Loop BB2_1222 Depth 3
                                        ;       Child Loop BB2_1249 Depth 3
	;; [unrolled: 1-line block ×9, first 2 shown]
                                        ;     Child Loop BB2_1375 Depth 2
                                        ;       Child Loop BB2_1381 Depth 3
                                        ;       Child Loop BB2_1408 Depth 3
	;; [unrolled: 1-line block ×3, first 2 shown]
	v_sub_co_u32 v48, vcc_lo, v4, v36
	v_sub_co_ci_u32_e32 v49, vcc_lo, v5, v37, vcc_lo
	s_mov_b32 s10, exec_lo
	s_delay_alu instid0(VALU_DEP_1)
	v_cmpx_lt_i64_e64 v[48:49], v[32:33]
	s_cbranch_execz .LBB2_61
; %bb.56:                               ;   in Loop: Header=BB2_55 Depth=1
	v_add_co_u32 v2, vcc_lo, s28, v48
	v_add_co_ci_u32_e32 v10, vcc_lo, s29, v49, vcc_lo
	v_mov_b32_e32 v8, v3
	s_delay_alu instid0(VALU_DEP_2) | instskip(NEXT) | instid1(VALU_DEP_1)
	v_or_b32_e32 v9, s27, v10
	v_cmp_ne_u64_e32 vcc_lo, 0, v[8:9]
                                        ; implicit-def: $vgpr8_vgpr9
	s_and_saveexec_b32 s3, vcc_lo
	s_delay_alu instid0(SALU_CYCLE_1)
	s_xor_b32 s12, exec_lo, s3
	s_cbranch_execz .LBB2_58
; %bb.57:                               ;   in Loop: Header=BB2_55 Depth=1
	s_add_u32 s40, s25, s27
	s_mov_b32 s26, s29
	s_mov_b32 s29, s28
	;; [unrolled: 1-line block ×9, first 2 shown]
	s_addc_u32 s41, s27, s27
	s_mov_b32 vcc_hi, s21
	s_xor_b64 s[20:21], s[40:41], s[14:15]
	s_mov_b32 s3, s4
	v_cvt_f32_u32_e32 v8, s20
	v_cvt_f32_u32_e32 v9, s21
	s_sub_u32 s13, 0, s20
	s_subb_u32 s39, 0, s21
	s_mov_b32 s4, s3
	s_delay_alu instid0(VALU_DEP_1) | instskip(NEXT) | instid1(VALU_DEP_1)
	v_fmac_f32_e32 v8, 0x4f800000, v9
	v_rcp_f32_e32 v8, v8
	s_waitcnt_depctr 0xfff
	v_mul_f32_e32 v8, 0x5f7ffffc, v8
	s_delay_alu instid0(VALU_DEP_1) | instskip(NEXT) | instid1(VALU_DEP_1)
	v_mul_f32_e32 v9, 0x2f800000, v8
	v_trunc_f32_e32 v9, v9
	s_delay_alu instid0(VALU_DEP_1) | instskip(SKIP_1) | instid1(VALU_DEP_2)
	v_fmac_f32_e32 v8, 0xcf800000, v9
	v_cvt_u32_f32_e32 v9, v9
	v_cvt_u32_f32_e32 v8, v8
	s_delay_alu instid0(VALU_DEP_2) | instskip(NEXT) | instid1(VALU_DEP_2)
	v_mul_lo_u32 v11, s13, v9
	v_mul_hi_u32 v38, s13, v8
	v_mul_lo_u32 v39, s39, v8
	s_delay_alu instid0(VALU_DEP_2) | instskip(SKIP_1) | instid1(VALU_DEP_2)
	v_add_nc_u32_e32 v11, v38, v11
	v_mul_lo_u32 v38, s13, v8
	v_add_nc_u32_e32 v11, v11, v39
	s_delay_alu instid0(VALU_DEP_2) | instskip(NEXT) | instid1(VALU_DEP_2)
	v_mul_hi_u32 v39, v8, v38
	v_mul_lo_u32 v50, v8, v11
	v_mul_hi_u32 v51, v8, v11
	v_mul_hi_u32 v52, v9, v38
	v_mul_lo_u32 v38, v9, v38
	v_mul_hi_u32 v53, v9, v11
	v_mul_lo_u32 v11, v9, v11
	v_add_co_u32 v39, vcc_lo, v39, v50
	v_add_co_ci_u32_e32 v50, vcc_lo, 0, v51, vcc_lo
	s_delay_alu instid0(VALU_DEP_2) | instskip(NEXT) | instid1(VALU_DEP_2)
	v_add_co_u32 v38, vcc_lo, v39, v38
	v_add_co_ci_u32_e32 v38, vcc_lo, v50, v52, vcc_lo
	v_add_co_ci_u32_e32 v39, vcc_lo, 0, v53, vcc_lo
	v_ashrrev_i32_e32 v52, 31, v10
	s_delay_alu instid0(VALU_DEP_3) | instskip(NEXT) | instid1(VALU_DEP_3)
	v_add_co_u32 v11, vcc_lo, v38, v11
	v_add_co_ci_u32_e32 v38, vcc_lo, 0, v39, vcc_lo
	s_delay_alu instid0(VALU_DEP_2) | instskip(NEXT) | instid1(VALU_DEP_2)
	v_add_co_u32 v8, vcc_lo, v8, v11
	v_add_co_ci_u32_e32 v9, vcc_lo, v9, v38, vcc_lo
	s_delay_alu instid0(VALU_DEP_2) | instskip(SKIP_1) | instid1(VALU_DEP_3)
	v_mul_hi_u32 v11, s13, v8
	v_mul_lo_u32 v39, s39, v8
	v_mul_lo_u32 v38, s13, v9
	s_delay_alu instid0(VALU_DEP_1) | instskip(SKIP_1) | instid1(VALU_DEP_2)
	v_add_nc_u32_e32 v11, v11, v38
	v_mul_lo_u32 v38, s13, v8
	v_add_nc_u32_e32 v11, v11, v39
	s_delay_alu instid0(VALU_DEP_2) | instskip(NEXT) | instid1(VALU_DEP_2)
	v_mul_hi_u32 v39, v8, v38
	v_mul_lo_u32 v50, v8, v11
	v_mul_hi_u32 v51, v8, v11
	v_mul_hi_u32 v53, v9, v38
	v_mul_lo_u32 v38, v9, v38
	v_mul_hi_u32 v54, v9, v11
	v_mul_lo_u32 v11, v9, v11
	v_add_co_u32 v39, vcc_lo, v39, v50
	v_add_co_ci_u32_e32 v50, vcc_lo, 0, v51, vcc_lo
	s_delay_alu instid0(VALU_DEP_2) | instskip(NEXT) | instid1(VALU_DEP_2)
	v_add_co_u32 v38, vcc_lo, v39, v38
	v_add_co_ci_u32_e32 v38, vcc_lo, v50, v53, vcc_lo
	v_add_co_ci_u32_e32 v39, vcc_lo, 0, v54, vcc_lo
	v_add_co_u32 v2, vcc_lo, v2, v52
	v_add_co_ci_u32_e32 v10, vcc_lo, v10, v52, vcc_lo
	s_delay_alu instid0(VALU_DEP_4) | instskip(NEXT) | instid1(VALU_DEP_4)
	v_add_co_u32 v11, vcc_lo, v38, v11
	v_add_co_ci_u32_e32 v38, vcc_lo, 0, v39, vcc_lo
	s_delay_alu instid0(VALU_DEP_4) | instskip(NEXT) | instid1(VALU_DEP_3)
	v_xor_b32_e32 v2, v2, v52
	v_add_co_u32 v39, vcc_lo, v8, v11
	s_delay_alu instid0(VALU_DEP_3) | instskip(SKIP_1) | instid1(VALU_DEP_3)
	v_add_co_ci_u32_e32 v50, vcc_lo, v9, v38, vcc_lo
	v_xor_b32_e32 v51, v10, v52
	v_mul_hi_u32 v53, v2, v39
	s_delay_alu instid0(VALU_DEP_3) | instskip(NEXT) | instid1(VALU_DEP_3)
	v_mad_u64_u32 v[8:9], null, v2, v50, 0
	v_mad_u64_u32 v[10:11], null, v51, v39, 0
	;; [unrolled: 1-line block ×3, first 2 shown]
	s_delay_alu instid0(VALU_DEP_3) | instskip(NEXT) | instid1(VALU_DEP_4)
	v_add_co_u32 v8, vcc_lo, v53, v8
	v_add_co_ci_u32_e32 v9, vcc_lo, 0, v9, vcc_lo
	s_delay_alu instid0(VALU_DEP_2) | instskip(NEXT) | instid1(VALU_DEP_2)
	v_add_co_u32 v8, vcc_lo, v8, v10
	v_add_co_ci_u32_e32 v8, vcc_lo, v9, v11, vcc_lo
	v_add_co_ci_u32_e32 v9, vcc_lo, 0, v39, vcc_lo
	s_delay_alu instid0(VALU_DEP_2) | instskip(NEXT) | instid1(VALU_DEP_2)
	v_add_co_u32 v10, vcc_lo, v8, v38
	v_add_co_ci_u32_e32 v11, vcc_lo, 0, v9, vcc_lo
	s_delay_alu instid0(VALU_DEP_2) | instskip(SKIP_1) | instid1(VALU_DEP_3)
	v_mul_lo_u32 v38, s21, v10
	v_mad_u64_u32 v[8:9], null, s20, v10, 0
	v_mul_lo_u32 v39, s20, v11
	s_delay_alu instid0(VALU_DEP_2) | instskip(NEXT) | instid1(VALU_DEP_2)
	v_sub_co_u32 v2, vcc_lo, v2, v8
	v_add3_u32 v9, v9, v39, v38
	s_delay_alu instid0(VALU_DEP_1) | instskip(NEXT) | instid1(VALU_DEP_1)
	v_sub_nc_u32_e32 v38, v51, v9
	v_subrev_co_ci_u32_e64 v8, s13, s21, v38, vcc_lo
	v_add_co_u32 v38, s13, v10, 2
	s_delay_alu instid0(VALU_DEP_1) | instskip(SKIP_3) | instid1(VALU_DEP_3)
	v_add_co_ci_u32_e64 v39, s13, 0, v11, s13
	v_sub_co_u32 v50, s13, v2, s20
	v_sub_co_ci_u32_e32 v9, vcc_lo, v51, v9, vcc_lo
	v_subrev_co_ci_u32_e64 v8, s13, 0, v8, s13
	v_cmp_le_u32_e32 vcc_lo, s20, v50
	s_delay_alu instid0(VALU_DEP_3) | instskip(SKIP_1) | instid1(VALU_DEP_4)
	v_cmp_eq_u32_e64 s13, s21, v9
	v_cndmask_b32_e64 v50, 0, -1, vcc_lo
	v_cmp_le_u32_e32 vcc_lo, s21, v8
	v_cndmask_b32_e64 v51, 0, -1, vcc_lo
	v_cmp_le_u32_e32 vcc_lo, s20, v2
	;; [unrolled: 2-line block ×3, first 2 shown]
	v_cndmask_b32_e64 v53, 0, -1, vcc_lo
	v_cmp_eq_u32_e32 vcc_lo, s21, v8
	s_delay_alu instid0(VALU_DEP_2) | instskip(SKIP_3) | instid1(VALU_DEP_3)
	v_cndmask_b32_e64 v2, v53, v2, s13
	v_cndmask_b32_e32 v8, v51, v50, vcc_lo
	v_add_co_u32 v50, vcc_lo, v10, 1
	v_add_co_ci_u32_e32 v51, vcc_lo, 0, v11, vcc_lo
	v_cmp_ne_u32_e32 vcc_lo, 0, v8
	s_mov_b32 s21, vcc_hi
	s_delay_alu instid0(VALU_DEP_2)
	v_dual_cndmask_b32 v8, v51, v39 :: v_dual_cndmask_b32 v9, v50, v38
	v_cmp_ne_u32_e32 vcc_lo, 0, v2
	v_xor_b32_e32 v2, s14, v52
	s_mov_b32 s14, s38
	s_mov_b32 s38, s19
	;; [unrolled: 1-line block ×3, first 2 shown]
	v_dual_cndmask_b32 v8, v11, v8 :: v_dual_cndmask_b32 v9, v10, v9
	v_xor_b32_e32 v10, s15, v52
	s_mov_b32 s1, s7
	s_mov_b32 s7, s28
	;; [unrolled: 1-line block ×3, first 2 shown]
	v_xor_b32_e32 v9, v9, v2
	v_xor_b32_e32 v11, v8, v10
	s_mov_b32 s29, s26
	s_delay_alu instid0(VALU_DEP_2) | instskip(NEXT) | instid1(VALU_DEP_2)
	v_sub_co_u32 v8, vcc_lo, v9, v2
	v_sub_co_ci_u32_e32 v9, vcc_lo, v11, v10, vcc_lo
                                        ; implicit-def: $vgpr2
.LBB2_58:                               ;   in Loop: Header=BB2_55 Depth=1
	s_and_not1_saveexec_b32 s3, s12
	s_cbranch_execz .LBB2_60
; %bb.59:                               ;   in Loop: Header=BB2_55 Depth=1
	v_cvt_f32_u32_e32 v8, s25
	s_delay_alu instid0(VALU_DEP_1) | instskip(SKIP_2) | instid1(VALU_DEP_1)
	v_rcp_iflag_f32_e32 v8, v8
	s_waitcnt_depctr 0xfff
	v_mul_f32_e32 v8, 0x4f7ffffe, v8
	v_cvt_u32_f32_e32 v8, v8
	s_delay_alu instid0(VALU_DEP_1) | instskip(NEXT) | instid1(VALU_DEP_1)
	v_mul_lo_u32 v9, s37, v8
	v_mul_hi_u32 v9, v8, v9
	s_delay_alu instid0(VALU_DEP_1) | instskip(NEXT) | instid1(VALU_DEP_1)
	v_add_nc_u32_e32 v8, v8, v9
	v_mul_hi_u32 v8, v2, v8
	s_delay_alu instid0(VALU_DEP_1) | instskip(NEXT) | instid1(VALU_DEP_1)
	v_mul_lo_u32 v9, v8, s25
	v_sub_nc_u32_e32 v2, v2, v9
	s_delay_alu instid0(VALU_DEP_1) | instskip(SKIP_1) | instid1(VALU_DEP_2)
	v_subrev_nc_u32_e32 v10, s25, v2
	v_cmp_le_u32_e32 vcc_lo, s25, v2
	v_dual_cndmask_b32 v2, v2, v10 :: v_dual_add_nc_u32 v9, 1, v8
	s_delay_alu instid0(VALU_DEP_1) | instskip(NEXT) | instid1(VALU_DEP_2)
	v_cndmask_b32_e32 v8, v8, v9, vcc_lo
	v_cmp_le_u32_e32 vcc_lo, s25, v2
	s_delay_alu instid0(VALU_DEP_2) | instskip(NEXT) | instid1(VALU_DEP_1)
	v_add_nc_u32_e32 v9, 1, v8
	v_cndmask_b32_e32 v2, v8, v9, vcc_lo
	s_delay_alu instid0(VALU_DEP_1)
	v_dual_mov_b32 v9, v3 :: v_dual_mov_b32 v8, v2
.LBB2_60:                               ;   in Loop: Header=BB2_55 Depth=1
	s_or_b32 exec_lo, exec_lo, s3
	s_delay_alu instid0(VALU_DEP_1) | instskip(NEXT) | instid1(VALU_DEP_2)
	v_add_co_u32 v2, vcc_lo, v8, 1
	v_add_co_ci_u32_e32 v39, vcc_lo, 0, v9, vcc_lo
	s_delay_alu instid0(VALU_DEP_2)
	v_and_b32_e32 v38, -2, v2
.LBB2_61:                               ;   in Loop: Header=BB2_55 Depth=1
	v_writelane_b32 v42, s16, 5
	v_writelane_b32 v42, s17, 6
	s_or_b32 exec_lo, exec_lo, s10
	v_mul_lo_u32 v2, v39, s30
	v_mul_lo_u32 v8, v38, s31
	v_mad_u64_u32 v[52:53], null, v38, s30, 0
	v_mov_b32_e32 v10, 0
	s_mov_b32 s20, 0
	s_delay_alu instid0(VALU_DEP_2) | instskip(NEXT) | instid1(VALU_DEP_3)
	v_add3_u32 v53, v53, v8, v2
	v_sub_co_u32 v8, vcc_lo, v48, v52
	s_delay_alu instid0(VALU_DEP_2) | instskip(NEXT) | instid1(VALU_DEP_1)
	v_sub_co_ci_u32_e32 v9, vcc_lo, v49, v53, vcc_lo
	v_cmp_lt_i64_e32 vcc_lo, v[38:39], v[8:9]
	v_cndmask_b32_e32 v8, v8, v38, vcc_lo
	v_add_co_u32 v50, vcc_lo, v36, v14
	v_add_co_ci_u32_e32 v51, vcc_lo, v37, v15, vcc_lo
	s_delay_alu instid0(VALU_DEP_3) | instskip(SKIP_1) | instid1(VALU_DEP_2)
	v_max_i32_e32 v68, 0, v8
	v_cmp_lt_i32_e32 vcc_lo, 0, v8
	v_add_nc_u32_e32 v2, 31, v68
	s_and_b32 s3, s14, vcc_lo
	s_delay_alu instid0(VALU_DEP_1) | instskip(NEXT) | instid1(VALU_DEP_1)
	v_lshrrev_b32_e32 v2, 1, v2
	v_dual_mov_b32 v2, 0 :: v_dual_and_b32 v9, 0x3ffffff0, v2
	s_delay_alu instid0(VALU_DEP_1)
	v_max_i32_e32 v8, s16, v9
	s_and_saveexec_b32 s15, s3
	s_cbranch_execz .LBB2_227
; %bb.62:                               ;   in Loop: Header=BB2_55 Depth=1
	v_lshlrev_b64 v[52:53], 3, v[52:53]
	v_mov_b32_e32 v10, 0
	s_mov_b32 s12, s21
	s_mov_b32 s13, 1
	s_mov_b32 s21, -1
.LBB2_63:                               ;   Parent Loop BB2_55 Depth=1
                                        ; =>  This Loop Header: Depth=2
                                        ;       Child Loop BB2_72 Depth 3
                                        ;       Child Loop BB2_101 Depth 3
	;; [unrolled: 1-line block ×9, first 2 shown]
	s_and_saveexec_b32 s3, s0
	s_cbranch_execz .LBB2_66
; %bb.64:                               ;   in Loop: Header=BB2_63 Depth=2
	s_cbranch_execnz .LBB2_1500
; %bb.65:                               ;   in Loop: Header=BB2_63 Depth=2
	ds_load_b64 v[54:55], v0
	v_lshlrev_b64 v[64:65], 3, v[50:51]
	v_ashrrev_i32_e32 v11, 31, v10
	s_waitcnt lgkmcnt(0)
	s_delay_alu instid0(VALU_DEP_2) | instskip(NEXT) | instid1(VALU_DEP_3)
	v_add_co_u32 v2, vcc_lo, v54, v64
	v_add_co_ci_u32_e32 v9, vcc_lo, v55, v65, vcc_lo
	s_delay_alu instid0(VALU_DEP_3) | instskip(NEXT) | instid1(VALU_DEP_3)
	v_lshlrev_b64 v[54:55], 3, v[10:11]
	v_add_co_u32 v2, vcc_lo, v2, v52
	s_delay_alu instid0(VALU_DEP_3) | instskip(NEXT) | instid1(VALU_DEP_2)
	v_add_co_ci_u32_e32 v9, vcc_lo, v9, v53, vcc_lo
	v_add_co_u32 v54, vcc_lo, v2, v54
	s_delay_alu instid0(VALU_DEP_2)
	v_add_co_ci_u32_e32 v55, vcc_lo, v9, v55, vcc_lo
	v_mov_b32_e32 v2, v3
	ds_store_b64 v0, v[54:55]
	ds_store_b64 v0, v[2:3]
.LBB2_66:                               ;   in Loop: Header=BB2_63 Depth=2
	s_or_b32 exec_lo, exec_lo, s3
	v_and_b32_e32 v2, 8, v30
	s_mov_b32 s5, -1
	s_mov_b32 s3, exec_lo
	s_delay_alu instid0(VALU_DEP_1)
	v_cmpx_ne_u32_e32 0, v2
	s_cbranch_execz .LBB2_80
; %bb.67:                               ;   in Loop: Header=BB2_63 Depth=2
	v_add_co_u32 v64, vcc_lo, v28, 8
	v_add_co_ci_u32_e32 v65, vcc_lo, 0, v29, vcc_lo
	v_add_co_u32 v54, vcc_lo, v22, 2
	v_add_co_ci_u32_e32 v55, vcc_lo, 0, v23, vcc_lo
	v_mov_b32_e32 v2, 1
	s_mov_b32 s5, exec_lo
	s_delay_alu instid0(VALU_DEP_2)
	v_cmpx_lt_u64_e64 v[64:65], v[54:55]
	s_cbranch_execz .LBB2_79
; %bb.68:                               ;   in Loop: Header=BB2_63 Depth=2
	v_mov_b32_e32 v2, 0
	s_mov_b32 s10, 0
                                        ; implicit-def: $sgpr17
	s_branch .LBB2_72
.LBB2_69:                               ;   in Loop: Header=BB2_72 Depth=3
	s_or_b32 exec_lo, exec_lo, s40
	v_mov_b32_e32 v9, 0
	s_or_not1_b32 s39, s39, exec_lo
.LBB2_70:                               ;   in Loop: Header=BB2_72 Depth=3
	s_or_b32 exec_lo, exec_lo, vcc_hi
	s_delay_alu instid0(VALU_DEP_1) | instskip(SKIP_2) | instid1(SALU_CYCLE_1)
	v_mov_b32_e32 v2, v9
	s_and_not1_b32 s17, s17, exec_lo
	s_and_b32 vcc_lo, s39, exec_lo
	s_or_b32 s17, s17, vcc_lo
.LBB2_71:                               ;   in Loop: Header=BB2_72 Depth=3
	s_or_b32 exec_lo, exec_lo, s26
	s_waitcnt vmcnt(0) lgkmcnt(0)
	v_add_co_u32 v64, vcc_lo, v28, 8
	v_add_co_ci_u32_e32 v65, vcc_lo, 0, v29, vcc_lo
	s_xor_b32 s26, s17, -1
	s_delay_alu instid0(VALU_DEP_1) | instskip(SKIP_1) | instid1(SALU_CYCLE_1)
	v_cmp_ge_u64_e32 vcc_lo, v[64:65], v[54:55]
	s_or_b32 s26, s26, vcc_lo
	s_and_b32 s26, exec_lo, s26
	s_delay_alu instid0(SALU_CYCLE_1) | instskip(NEXT) | instid1(SALU_CYCLE_1)
	s_or_b32 s10, s26, s10
	s_and_not1_b32 exec_lo, exec_lo, s10
	s_cbranch_execz .LBB2_78
.LBB2_72:                               ;   Parent Loop BB2_55 Depth=1
                                        ;     Parent Loop BB2_63 Depth=2
                                        ; =>    This Inner Loop Header: Depth=3
	s_sleep 1
	flat_load_b64 v[28:29], v[20:21] glc
	v_and_b32_e32 v9, 64, v30
	s_and_not1_b32 s17, s17, exec_lo
	s_mov_b32 s26, exec_lo
	s_delay_alu instid0(VALU_DEP_1)
	v_cmpx_eq_u32_e32 0, v9
	s_cbranch_execz .LBB2_71
; %bb.73:                               ;   in Loop: Header=BB2_72 Depth=3
	v_add_nc_u32_e32 v9, 1, v2
	s_mov_b32 s39, -1
	s_mov_b32 vcc_hi, exec_lo
	v_cmpx_lt_i32_e32 0x270e, v2
	s_cbranch_execz .LBB2_70
; %bb.74:                               ;   in Loop: Header=BB2_72 Depth=3
	s_cbranch_execnz .LBB2_1522
; %bb.75:                               ;   in Loop: Header=BB2_72 Depth=3
	ds_load_b64 v[64:65], v0
	s_mov_b32 s40, exec_lo
	s_waitcnt vmcnt(0) lgkmcnt(0)
	s_waitcnt_vscnt null, 0x0
	flat_load_b32 v2, v[64:65] glc
	s_waitcnt vmcnt(0) lgkmcnt(0)
	buffer_gl1_inv
	buffer_gl0_inv
	v_cmpx_ne_u32_e32 0, v2
	s_cbranch_execz .LBB2_69
; %bb.76:                               ;   in Loop: Header=BB2_72 Depth=3
	ds_store_b32 v0, v2
	s_cbranch_execnz .LBB2_1541
; %bb.77:                               ;   in Loop: Header=BB2_72 Depth=3
	v_or_b32_e32 v30, 64, v30
	s_xor_b32 s39, exec_lo, -1
	s_branch .LBB2_69
.LBB2_78:                               ;   in Loop: Header=BB2_63 Depth=2
	s_or_b32 exec_lo, exec_lo, s10
	v_and_b32_e32 v2, 8, v30
.LBB2_79:                               ;   in Loop: Header=BB2_63 Depth=2
	s_or_b32 exec_lo, exec_lo, s5
	s_delay_alu instid0(VALU_DEP_1)
	v_cmp_eq_u32_e32 vcc_lo, 0, v2
	;;#ASMSTART
	s_wakeup
	;;#ASMEND
	s_or_not1_b32 s5, vcc_lo, exec_lo
.LBB2_80:                               ;   in Loop: Header=BB2_63 Depth=2
	s_or_b32 exec_lo, exec_lo, s3
	v_sub_nc_u32_e32 v2, v68, v10
	s_xor_b32 s5, s5, -1
	s_delay_alu instid0(VALU_DEP_1)
	v_min_i32_e32 v8, v8, v2
	s_and_saveexec_b32 s3, s5
	s_cbranch_execz .LBB2_90
; %bb.81:                               ;   in Loop: Header=BB2_63 Depth=2
	v_and_b32_e32 v2, 0x100, v30
	v_and_b32_e32 v54, 7, v22
	s_mov_b32 s10, 0
	s_mov_b32 s5, exec_lo
                                        ; implicit-def: $vgpr64_vgpr65
	s_delay_alu instid0(VALU_DEP_2)
	v_cmpx_ne_u32_e32 0, v2
	s_xor_b32 s5, exec_lo, s5
	s_cbranch_execz .LBB2_98
; %bb.82:                               ;   in Loop: Header=BB2_63 Depth=2
	v_mad_u64_u32 v[66:67], null, v54, 24, v[6:7]
	v_ashrrev_i32_e32 v9, 31, v8
	s_mov_b32 s10, -1
	s_mov_b32 s17, exec_lo
	s_delay_alu instid0(VALU_DEP_1)
	v_lshlrev_b64 v[64:65], 3, v[8:9]
	flat_load_b32 v2, v[66:67]
	flat_store_b64 v[66:67], v[64:65] offset:8
                                        ; implicit-def: $vgpr64_vgpr65
	s_waitcnt vmcnt(0) lgkmcnt(1)
	v_cmpx_eq_u32_e32 1, v2
	s_cbranch_execz .LBB2_84
; %bb.83:                               ;   in Loop: Header=BB2_63 Depth=2
	flat_load_b32 v54, v[66:67] offset:4 glc
	s_xor_b32 s10, exec_lo, -1
	s_waitcnt vmcnt(0) lgkmcnt(0)
	v_ashrrev_i32_e32 v55, 31, v54
	s_delay_alu instid0(VALU_DEP_1)
	v_lshrrev_b64 v[64:65], 3, v[54:55]
                                        ; implicit-def: $vgpr54_vgpr55
.LBB2_84:                               ;   in Loop: Header=BB2_63 Depth=2
	s_or_b32 exec_lo, exec_lo, s17
	s_delay_alu instid0(SALU_CYCLE_1)
	s_and_b32 s10, s10, exec_lo
	s_and_not1_saveexec_b32 s5, s5
	s_cbranch_execnz .LBB2_99
.LBB2_85:                               ;   in Loop: Header=BB2_63 Depth=2
	s_or_b32 exec_lo, exec_lo, s5
	s_and_saveexec_b32 s5, s10
.LBB2_86:                               ;   in Loop: Header=BB2_63 Depth=2
	v_mul_lo_u32 v2, v3, v86
	v_mul_lo_u32 v9, v54, v87
	v_mad_u64_u32 v[64:65], null, v54, v86, 0
	s_delay_alu instid0(VALU_DEP_1)
	v_add3_u32 v65, v65, v9, v2
.LBB2_87:                               ;   in Loop: Header=BB2_63 Depth=2
	s_or_b32 exec_lo, exec_lo, s5
	s_delay_alu instid0(VALU_DEP_1) | instskip(SKIP_2) | instid1(VALU_DEP_2)
	v_lshlrev_b64 v[54:55], 3, v[64:65]
	v_and_b32_e32 v2, 0x2000, v30
	s_mov_b32 s5, exec_lo
	v_add_co_u32 v54, vcc_lo, v24, v54
	s_delay_alu instid0(VALU_DEP_3)
	v_add_co_ci_u32_e32 v55, vcc_lo, v25, v55, vcc_lo
	ds_store_b64 v0, v[54:55] offset:784
	v_cmpx_ne_u32_e32 0, v2
	s_cbranch_execz .LBB2_89
; %bb.88:                               ;   in Loop: Header=BB2_63 Depth=2
	ds_load_b64 v[54:55], v0 offset:584
	s_waitcnt lgkmcnt(0)
	v_add_co_u32 v54, vcc_lo, v54, 1
	v_add_co_ci_u32_e32 v55, vcc_lo, 0, v55, vcc_lo
	ds_store_b64 v0, v[54:55] offset:584
.LBB2_89:                               ;   in Loop: Header=BB2_63 Depth=2
	s_or_b32 exec_lo, exec_lo, s5
	v_add_co_u32 v22, vcc_lo, v22, 2
	v_add_co_ci_u32_e32 v23, vcc_lo, 0, v23, vcc_lo
.LBB2_90:                               ;   in Loop: Header=BB2_63 Depth=2
	s_or_b32 exec_lo, exec_lo, s3
	s_and_saveexec_b32 s5, s38
	s_cbranch_execz .LBB2_114
; %bb.91:                               ;   in Loop: Header=BB2_63 Depth=2
	s_and_saveexec_b32 s3, s4
	s_delay_alu instid0(SALU_CYCLE_1)
	s_xor_b32 s3, exec_lo, s3
	s_cbranch_execz .LBB2_111
; %bb.92:                               ;   in Loop: Header=BB2_63 Depth=2
	s_and_saveexec_b32 s10, s1
	s_cbranch_execz .LBB2_110
; %bb.93:                               ;   in Loop: Header=BB2_63 Depth=2
	s_mov_b32 s17, exec_lo
	s_mov_b32 s39, exec_lo
	v_mbcnt_lo_u32_b32 v2, s17, 0
	s_waitcnt lgkmcnt(0)
	s_waitcnt_vscnt null, 0x0
	buffer_gl1_inv
	buffer_gl0_inv
	v_cmpx_eq_u32_e32 0, v2
	s_cbranch_execz .LBB2_95
; %bb.94:                               ;   in Loop: Header=BB2_63 Depth=2
	s_bcnt1_i32_b32 s17, s17
	s_delay_alu instid0(SALU_CYCLE_1)
	v_mov_b32_e32 v2, s17
	ds_add_u64 v0, v[2:3]
	s_cbranch_execnz .LBB2_1567
.LBB2_95:                               ;   in Loop: Header=BB2_63 Depth=2
	s_or_b32 exec_lo, exec_lo, s39
	s_cbranch_execnz .LBB2_1547
; %bb.96:                               ;   in Loop: Header=BB2_63 Depth=2
	ds_load_b64 v[54:55], v0
	v_add_co_u32 v12, vcc_lo, v12, v96
	v_add_co_ci_u32_e32 v13, vcc_lo, 0, v13, vcc_lo
	s_mov_b32 s17, s38
	s_mov_b32 s26, s37
	s_mov_b32 vcc_hi, s36
	s_mov_b32 s36, exec_lo
	s_waitcnt lgkmcnt(0)
	v_cmpx_lt_u64_e64 v[54:55], v[12:13]
	s_cbranch_execz .LBB2_109
; %bb.97:                               ;   in Loop: Header=BB2_63 Depth=2
	s_mov_b32 s37, 0
	s_mov_b32 s40, 0
                                        ; implicit-def: $sgpr38
                                        ; implicit-def: $sgpr39
	s_branch .LBB2_101
.LBB2_98:                               ;   in Loop: Header=BB2_63 Depth=2
	s_and_not1_saveexec_b32 s5, s5
	s_cbranch_execz .LBB2_85
.LBB2_99:                               ;   in Loop: Header=BB2_63 Depth=2
	s_or_b32 s10, s10, exec_lo
                                        ; implicit-def: $vgpr64_vgpr65
	s_or_b32 exec_lo, exec_lo, s5
	s_and_saveexec_b32 s5, s10
	s_cbranch_execnz .LBB2_86
	s_branch .LBB2_87
.LBB2_100:                              ;   in Loop: Header=BB2_101 Depth=3
	s_or_b32 exec_lo, exec_lo, s42
	s_delay_alu instid0(SALU_CYCLE_1) | instskip(NEXT) | instid1(SALU_CYCLE_1)
	s_and_b32 vcc_lo, exec_lo, vcc_lo
	s_or_b32 s37, vcc_lo, s37
	s_and_not1_b32 vcc_lo, s38, exec_lo
	s_and_b32 s38, s39, exec_lo
	s_delay_alu instid0(SALU_CYCLE_1)
	s_or_b32 s38, vcc_lo, s38
	s_and_not1_b32 exec_lo, exec_lo, s37
	s_cbranch_execz .LBB2_107
.LBB2_101:                              ;   Parent Loop BB2_55 Depth=1
                                        ;     Parent Loop BB2_63 Depth=2
                                        ; =>    This Inner Loop Header: Depth=3
	s_add_i32 s40, s40, 1
                                        ; implicit-def: $sgpr42
	s_delay_alu instid0(SALU_CYCLE_1) | instskip(SKIP_1) | instid1(SALU_CYCLE_1)
	s_cmpk_lg_i32 s40, 0x2710
	s_cselect_b32 s41, -1, 0
	s_and_b32 vcc_lo, exec_lo, s41
	s_cbranch_vccz .LBB2_105
.LBB2_102:                              ;   in Loop: Header=BB2_101 Depth=3
	s_and_not1_b32 s39, s39, exec_lo
	s_and_b32 s42, s42, exec_lo
	s_mov_b32 vcc_lo, -1
	s_or_b32 s39, s39, s42
	s_and_saveexec_b32 s42, s41
	s_cbranch_execz .LBB2_100
; %bb.103:                              ;   in Loop: Header=BB2_101 Depth=3
	s_sleep 1
	s_cbranch_execnz .LBB2_1595
; %bb.104:                              ;   in Loop: Header=BB2_101 Depth=3
	ds_load_b64 v[54:55], v0
	s_and_not1_b32 s39, s39, exec_lo
	s_waitcnt lgkmcnt(0)
	v_cmp_ge_u64_e32 vcc_lo, v[54:55], v[12:13]
	s_or_not1_b32 vcc_lo, vcc_lo, exec_lo
	s_branch .LBB2_100
.LBB2_105:                              ;   in Loop: Header=BB2_101 Depth=3
	s_cbranch_execnz .LBB2_1601
; %bb.106:                              ;   in Loop: Header=BB2_101 Depth=3
	ds_load_b64 v[54:55], v0
	s_and_not1_b32 s41, s41, exec_lo
	s_mov_b32 s40, 0
	s_mov_b32 s42, -1
	s_waitcnt lgkmcnt(0)
	flat_load_b32 v2, v[54:55] glc
	s_waitcnt vmcnt(0) lgkmcnt(0)
	buffer_gl1_inv
	buffer_gl0_inv
	v_cmp_eq_u32_e32 vcc_lo, 0, v2
	s_and_b32 vcc_lo, vcc_lo, exec_lo
	s_delay_alu instid0(SALU_CYCLE_1)
	s_or_b32 s41, s41, vcc_lo
	s_branch .LBB2_102
.LBB2_107:                              ;   in Loop: Header=BB2_63 Depth=2
	s_or_b32 exec_lo, exec_lo, s37
	s_and_saveexec_b32 vcc_lo, s38
	s_delay_alu instid0(SALU_CYCLE_1)
	s_xor_b32 vcc_lo, exec_lo, vcc_lo
	s_cbranch_execz .LBB2_109
; %bb.108:                              ;   in Loop: Header=BB2_63 Depth=2
	ds_store_b32 v0, v129
	s_cbranch_execnz .LBB2_1815
.LBB2_109:                              ;   in Loop: Header=BB2_63 Depth=2
	s_or_b32 exec_lo, exec_lo, s36
	s_mov_b32 s36, vcc_hi
	s_mov_b32 s37, s26
	s_mov_b32 s38, s17
	;;#ASMSTART
	s_wakeup
	;;#ASMEND
.LBB2_110:                              ;   in Loop: Header=BB2_63 Depth=2
	s_or_b32 exec_lo, exec_lo, s10
.LBB2_111:                              ;   in Loop: Header=BB2_63 Depth=2
	s_and_not1_saveexec_b32 s3, s3
	s_cbranch_execz .LBB2_113
; %bb.112:                              ;   in Loop: Header=BB2_63 Depth=2
	s_waitcnt lgkmcnt(0)
	s_waitcnt_vscnt null, 0x0
	buffer_gl1_inv
	buffer_gl0_inv
	s_barrier
.LBB2_113:                              ;   in Loop: Header=BB2_63 Depth=2
	s_or_b32 exec_lo, exec_lo, s3
.LBB2_114:                              ;   in Loop: Header=BB2_63 Depth=2
	s_delay_alu instid0(SALU_CYCLE_1)
	s_or_b32 exec_lo, exec_lo, s5
	s_cbranch_execnz .LBB2_1498
; %bb.115:                              ;   in Loop: Header=BB2_63 Depth=2
	ds_load_b32 v11, v0
	v_and_b32_e32 v2, 0x4000, v30
	s_xor_b32 s3, s2, -1
	s_delay_alu instid0(VALU_DEP_1) | instskip(SKIP_1) | instid1(SALU_CYCLE_1)
	v_cmp_ne_u32_e32 vcc_lo, 0, v2
	s_and_b32 s3, s3, vcc_lo
	s_and_saveexec_b32 s5, s3
	s_cbranch_execz .LBB2_137
; %bb.116:                              ;   in Loop: Header=BB2_63 Depth=2
	s_and_saveexec_b32 s3, s4
	s_delay_alu instid0(SALU_CYCLE_1)
	s_xor_b32 s3, exec_lo, s3
	s_cbranch_execz .LBB2_134
; %bb.117:                              ;   in Loop: Header=BB2_63 Depth=2
	s_and_saveexec_b32 s10, s1
	s_cbranch_execz .LBB2_133
; %bb.118:                              ;   in Loop: Header=BB2_63 Depth=2
	s_mov_b32 s26, s37
	s_mov_b32 s37, exec_lo
	s_mov_b32 s17, s38
	v_mbcnt_lo_u32_b32 v2, s37, 0
	s_mov_b32 vcc_hi, s36
	s_mov_b32 s36, exec_lo
	s_waitcnt lgkmcnt(0)
	s_waitcnt_vscnt null, 0x0
	buffer_gl1_inv
	buffer_gl0_inv
	v_cmpx_eq_u32_e32 0, v2
	s_cbranch_execz .LBB2_120
; %bb.119:                              ;   in Loop: Header=BB2_63 Depth=2
	s_bcnt1_i32_b32 vcc_lo, s37
	s_delay_alu instid0(SALU_CYCLE_1)
	v_mov_b32_e32 v2, vcc_lo
	ds_add_u64 v0, v[2:3]
	s_cbranch_execnz .LBB2_1593
.LBB2_120:                              ;   in Loop: Header=BB2_63 Depth=2
	s_or_b32 exec_lo, exec_lo, s36
	s_cbranch_execnz .LBB2_1581
; %bb.121:                              ;   in Loop: Header=BB2_63 Depth=2
	ds_load_b64 v[54:55], v0
	v_add_co_u32 v12, vcc_lo, v12, v96
	v_add_co_ci_u32_e32 v13, vcc_lo, 0, v13, vcc_lo
	s_mov_b32 s36, exec_lo
	s_waitcnt lgkmcnt(0)
	s_delay_alu instid0(VALU_DEP_1)
	v_cmpx_lt_u64_e64 v[54:55], v[12:13]
	s_cbranch_execz .LBB2_132
; %bb.122:                              ;   in Loop: Header=BB2_63 Depth=2
	s_mov_b32 s37, 0
	s_mov_b32 s40, 0
                                        ; implicit-def: $sgpr38
                                        ; implicit-def: $sgpr39
	s_branch .LBB2_124
.LBB2_123:                              ;   in Loop: Header=BB2_124 Depth=3
	s_or_b32 exec_lo, exec_lo, s42
	s_delay_alu instid0(SALU_CYCLE_1) | instskip(NEXT) | instid1(SALU_CYCLE_1)
	s_and_b32 vcc_lo, exec_lo, vcc_lo
	s_or_b32 s37, vcc_lo, s37
	s_and_not1_b32 vcc_lo, s38, exec_lo
	s_and_b32 s38, s39, exec_lo
	s_delay_alu instid0(SALU_CYCLE_1)
	s_or_b32 s38, vcc_lo, s38
	s_and_not1_b32 exec_lo, exec_lo, s37
	s_cbranch_execz .LBB2_130
.LBB2_124:                              ;   Parent Loop BB2_55 Depth=1
                                        ;     Parent Loop BB2_63 Depth=2
                                        ; =>    This Inner Loop Header: Depth=3
	s_add_i32 s40, s40, 1
                                        ; implicit-def: $sgpr42
	s_delay_alu instid0(SALU_CYCLE_1) | instskip(SKIP_1) | instid1(SALU_CYCLE_1)
	s_cmpk_lg_i32 s40, 0x2710
	s_cselect_b32 s41, -1, 0
	s_and_b32 vcc_lo, exec_lo, s41
	s_cbranch_vccz .LBB2_128
.LBB2_125:                              ;   in Loop: Header=BB2_124 Depth=3
	s_and_not1_b32 s39, s39, exec_lo
	s_and_b32 s42, s42, exec_lo
	s_mov_b32 vcc_lo, -1
	s_or_b32 s39, s39, s42
	s_and_saveexec_b32 s42, s41
	s_cbranch_execz .LBB2_123
; %bb.126:                              ;   in Loop: Header=BB2_124 Depth=3
	s_sleep 1
	s_cbranch_execnz .LBB2_1633
; %bb.127:                              ;   in Loop: Header=BB2_124 Depth=3
	ds_load_b64 v[54:55], v0
	s_and_not1_b32 s39, s39, exec_lo
	s_waitcnt lgkmcnt(0)
	v_cmp_ge_u64_e32 vcc_lo, v[54:55], v[12:13]
	s_or_not1_b32 vcc_lo, vcc_lo, exec_lo
	s_branch .LBB2_123
.LBB2_128:                              ;   in Loop: Header=BB2_124 Depth=3
	s_cbranch_execnz .LBB2_1651
; %bb.129:                              ;   in Loop: Header=BB2_124 Depth=3
	ds_load_b64 v[54:55], v0
	s_and_not1_b32 s41, s41, exec_lo
	s_mov_b32 s40, 0
	s_mov_b32 s42, -1
	s_waitcnt lgkmcnt(0)
	flat_load_b32 v2, v[54:55] glc
	s_waitcnt vmcnt(0) lgkmcnt(0)
	buffer_gl1_inv
	buffer_gl0_inv
	v_cmp_eq_u32_e32 vcc_lo, 0, v2
	s_and_b32 vcc_lo, vcc_lo, exec_lo
	s_delay_alu instid0(SALU_CYCLE_1)
	s_or_b32 s41, s41, vcc_lo
	s_branch .LBB2_125
.LBB2_130:                              ;   in Loop: Header=BB2_63 Depth=2
	s_or_b32 exec_lo, exec_lo, s37
	s_and_saveexec_b32 vcc_lo, s38
	s_delay_alu instid0(SALU_CYCLE_1)
	s_xor_b32 vcc_lo, exec_lo, vcc_lo
	s_cbranch_execz .LBB2_132
; %bb.131:                              ;   in Loop: Header=BB2_63 Depth=2
	ds_store_b32 v0, v129
	s_cbranch_execnz .LBB2_1865
.LBB2_132:                              ;   in Loop: Header=BB2_63 Depth=2
	s_or_b32 exec_lo, exec_lo, s36
	s_mov_b32 s36, vcc_hi
	s_mov_b32 s37, s26
	s_mov_b32 s38, s17
	;;#ASMSTART
	s_wakeup
	;;#ASMEND
.LBB2_133:                              ;   in Loop: Header=BB2_63 Depth=2
	s_or_b32 exec_lo, exec_lo, s10
.LBB2_134:                              ;   in Loop: Header=BB2_63 Depth=2
	s_and_not1_saveexec_b32 s3, s3
	s_cbranch_execz .LBB2_136
; %bb.135:                              ;   in Loop: Header=BB2_63 Depth=2
	s_waitcnt lgkmcnt(0)
	s_waitcnt_vscnt null, 0x0
	buffer_gl1_inv
	buffer_gl0_inv
	s_barrier
.LBB2_136:                              ;   in Loop: Header=BB2_63 Depth=2
	s_or_b32 exec_lo, exec_lo, s3
.LBB2_137:                              ;   in Loop: Header=BB2_63 Depth=2
	s_delay_alu instid0(SALU_CYCLE_1)
	s_or_b32 exec_lo, exec_lo, s5
	s_cbranch_execnz .LBB2_1524
; %bb.138:                              ;   in Loop: Header=BB2_63 Depth=2
	ds_load_b64 v[54:55], v0
	v_mov_b32_e32 v9, 0
	s_waitcnt lgkmcnt(0)
	v_cmp_eq_u64_e32 vcc_lo, 0, v[54:55]
	s_or_b32 s3, vcc_lo, vcc_lo
	s_delay_alu instid0(SALU_CYCLE_1)
	s_and_b32 vcc_lo, exec_lo, s3
	s_cbranch_vccnz .LBB2_173
; %bb.139:                              ;   in Loop: Header=BB2_63 Depth=2
	s_mov_b32 s3, s38
	s_mov_b32 s5, s13
	;; [unrolled: 1-line block ×5, first 2 shown]
	s_mov_b32 s13, -1
	s_mov_b32 s14, exec_lo
	v_readlane_b32 s18, v42, 3
	s_delay_alu instid0(VALU_DEP_1) | instskip(NEXT) | instid1(SALU_CYCLE_1)
	s_and_b32 s18, s14, s18
	s_mov_b32 exec_lo, s18
	s_cbranch_execz .LBB2_141
; %bb.140:                              ;   in Loop: Header=BB2_63 Depth=2
	ds_load_b32 v2, v0 offset:720
	s_waitcnt lgkmcnt(0)
	v_and_b32_e32 v2, 15, v2
	s_delay_alu instid0(VALU_DEP_1)
	v_cmp_eq_u32_e32 vcc_lo, 0, v2
	s_or_not1_b32 s13, vcc_lo, exec_lo
.LBB2_141:                              ;   in Loop: Header=BB2_63 Depth=2
	s_or_b32 exec_lo, exec_lo, s14
	s_delay_alu instid0(SALU_CYCLE_1) | instskip(SKIP_1) | instid1(VALU_DEP_1)
	s_mov_b32 s14, exec_lo
	v_readlane_b32 s18, v42, 4
	s_and_b32 s18, s14, s18
	s_delay_alu instid0(SALU_CYCLE_1)
	s_mov_b32 exec_lo, s18
	s_cbranch_execz .LBB2_143
; %bb.142:                              ;   in Loop: Header=BB2_63 Depth=2
	ds_load_b32 v2, v0 offset:784
	s_waitcnt lgkmcnt(0)
	v_and_b32_e32 v2, 15, v2
	s_delay_alu instid0(VALU_DEP_1) | instskip(SKIP_3) | instid1(SALU_CYCLE_1)
	v_cmp_eq_u32_e32 vcc_lo, 0, v2
	s_and_b32 s18, s13, vcc_lo
	s_and_not1_b32 s13, s13, exec_lo
	s_and_b32 s18, s18, exec_lo
	s_or_b32 s13, s13, s18
.LBB2_143:                              ;   in Loop: Header=BB2_63 Depth=2
	s_or_b32 exec_lo, exec_lo, s14
	v_cmp_eq_u32_e32 vcc_lo, 0, v11
	s_xor_b32 s13, s13, -1
	v_mov_b32_e32 v11, 0
	v_cndmask_b32_e64 v2, 0, 1, s13
	;;#ASMSTART
	;;#ASMEND
	v_cndmask_b32_e32 v9, 0, v8, vcc_lo
	s_delay_alu instid0(VALU_DEP_2) | instskip(SKIP_1) | instid1(VALU_DEP_2)
	v_cmp_ne_u32_e32 vcc_lo, 0, v2
	s_mov_b32 s13, -1
	v_lshlrev_b32_e32 v2, 3, v9
	s_cbranch_vccz .LBB2_145
; %bb.144:                              ;   in Loop: Header=BB2_63 Depth=2
	v_mov_b32_e32 v64, v98
	v_mov_b32_e32 v54, v97
	s_branch .LBB2_160
.LBB2_145:                              ;   in Loop: Header=BB2_63 Depth=2
	s_delay_alu instid0(VALU_DEP_1) | instskip(SKIP_1) | instid1(VALU_DEP_1)
	v_ashrrev_i32_e32 v11, 31, v2
	s_mov_b32 s14, exec_lo
	v_lshrrev_b32_e32 v11, 22, v11
	s_delay_alu instid0(VALU_DEP_1) | instskip(NEXT) | instid1(VALU_DEP_1)
	v_add_nc_u32_e32 v11, v2, v11
	v_ashrrev_i32_e32 v11, 10, v11
	s_delay_alu instid0(VALU_DEP_1) | instskip(NEXT) | instid1(VALU_DEP_1)
	v_sub_nc_u32_e32 v66, v11, v97
	v_cmpx_lt_i32_e32 0, v66
	s_cbranch_execz .LBB2_150
; %bb.146:                              ;   in Loop: Header=BB2_63 Depth=2
	s_cbranch_execnz .LBB2_1605
; %bb.147:                              ;   in Loop: Header=BB2_63 Depth=2
	ds_load_b64 v[54:55], v0
	v_dual_mov_b32 v65, v35 :: v_dual_mov_b32 v64, v34
	s_mov_b32 s18, 0
.LBB2_148:                              ;   Parent Loop BB2_55 Depth=1
                                        ;     Parent Loop BB2_63 Depth=2
                                        ; =>    This Inner Loop Header: Depth=3
	s_waitcnt lgkmcnt(0)
	s_delay_alu instid0(VALU_DEP_1) | instskip(NEXT) | instid1(VALU_DEP_2)
	v_add_co_u32 v69, vcc_lo, v54, v64
	v_add_co_ci_u32_e32 v70, vcc_lo, v55, v65, vcc_lo
	v_sub_nc_u32_e32 v66, v66, v96
	v_add_co_u32 v64, s13, v64, v102
	s_clause 0x1
	global_load_b128 v[80:83], v[69:70], off slc dlc
	global_load_b128 v[130:133], v[69:70], off offset:512 slc dlc
	v_add_co_ci_u32_e64 v65, s13, v65, v103, s13
	v_cmp_gt_i32_e32 vcc_lo, 1, v66
	s_waitcnt vmcnt(1)
	global_store_b128 v[69:70], v[80:83], off glc slc dlc
	s_waitcnt vmcnt(0)
	global_store_b128 v[69:70], v[130:133], off offset:512 glc slc dlc
	s_or_b32 s18, vcc_lo, s18
	s_delay_alu instid0(SALU_CYCLE_1)
	s_and_not1_b32 exec_lo, exec_lo, s18
	s_cbranch_execnz .LBB2_148
; %bb.149:                              ;   in Loop: Header=BB2_63 Depth=2
	s_or_b32 exec_lo, exec_lo, s18
.LBB2_150:                              ;   in Loop: Header=BB2_63 Depth=2
	s_delay_alu instid0(SALU_CYCLE_1) | instskip(SKIP_4) | instid1(VALU_DEP_2)
	s_or_b32 exec_lo, exec_lo, s14
	v_lshlrev_b32_e32 v65, 10, v11
	v_mov_b32_e32 v11, 0
	s_mov_b32 s13, 0
	s_mov_b32 s18, exec_lo
                                        ; implicit-def: $vgpr64
                                        ; implicit-def: $vgpr54
	v_cmpx_ne_u32_e64 v2, v65
	s_cbranch_execz .LBB2_159
; %bb.151:                              ;   in Loop: Header=BB2_63 Depth=2
	v_lshlrev_b32_e32 v11, 5, v66
	v_sub_nc_u32_e32 v55, v2, v65
	s_mov_b32 s26, exec_lo
	s_delay_alu instid0(VALU_DEP_2) | instskip(NEXT) | instid1(VALU_DEP_2)
	v_sub_nc_u32_e32 v11, v98, v11
	v_ashrrev_i32_e32 v64, 31, v55
	s_delay_alu instid0(VALU_DEP_2) | instskip(NEXT) | instid1(VALU_DEP_2)
	v_ashrrev_i32_e32 v54, 31, v11
	v_lshrrev_b32_e32 v64, 23, v64
	s_delay_alu instid0(VALU_DEP_2) | instskip(NEXT) | instid1(VALU_DEP_2)
	v_lshrrev_b32_e32 v54, 27, v54
	v_add_nc_u32_e32 v64, v55, v64
	s_delay_alu instid0(VALU_DEP_2) | instskip(NEXT) | instid1(VALU_DEP_2)
	v_add_nc_u32_e32 v54, v11, v54
	v_ashrrev_i32_e32 v70, 9, v64
	s_delay_alu instid0(VALU_DEP_2) | instskip(SKIP_1) | instid1(VALU_DEP_2)
	v_and_b32_e32 v66, 0xffffffe0, v54
	v_ashrrev_i32_e32 v54, 5, v54
	v_sub_nc_u32_e32 v67, v11, v66
	v_and_b32_e32 v66, 0xfffffe00, v64
	s_delay_alu instid0(VALU_DEP_2) | instskip(NEXT) | instid1(VALU_DEP_2)
	v_lshlrev_b32_e32 v11, 4, v67
	v_sub_nc_u32_e32 v69, v55, v66
	s_delay_alu instid0(VALU_DEP_2) | instskip(NEXT) | instid1(VALU_DEP_2)
	v_lshl_add_u32 v64, v54, 9, v11
	v_cmp_lt_i32_e32 vcc_lo, 15, v69
	s_delay_alu instid0(VALU_DEP_2) | instskip(SKIP_1) | instid1(VALU_DEP_1)
	v_sub_nc_u32_e32 v11, v55, v64
	v_add_co_ci_u32_e64 v70, s13, 0, v70, vcc_lo
	v_sub_nc_u32_e32 v70, v70, v54
	s_delay_alu instid0(VALU_DEP_3)
	v_cmpx_lt_i32_e32 15, v11
	s_cbranch_execz .LBB2_156
; %bb.152:                              ;   in Loop: Header=BB2_63 Depth=2
	s_cbranch_execnz .LBB2_1669
; %bb.153:                              ;   in Loop: Header=BB2_63 Depth=2
	ds_load_b64 v[54:55], v0
	v_add_nc_u32_e32 v64, v64, v65
	s_mov_b32 vcc_hi, 0
	s_delay_alu instid0(VALU_DEP_1)
	v_ashrrev_i32_e32 v80, 31, v64
.LBB2_154:                              ;   Parent Loop BB2_55 Depth=1
                                        ;     Parent Loop BB2_63 Depth=2
                                        ; =>    This Inner Loop Header: Depth=3
	s_waitcnt lgkmcnt(0)
	v_add_co_u32 v130, s13, v54, v64
	s_delay_alu instid0(VALU_DEP_1)
	v_add_co_ci_u32_e64 v131, s13, v55, v80, s13
	v_sub_nc_u32_e32 v11, v11, v99
	v_add_co_u32 v64, s14, v64, v114
	global_load_b128 v[81:84], v[130:131], off slc dlc
	v_sub_nc_u32_e32 v70, v70, v96
	v_cmp_gt_i32_e64 s13, 16, v11
	v_add_co_ci_u32_e64 v80, s14, v80, v115, s14
	s_delay_alu instid0(VALU_DEP_2)
	s_or_b32 vcc_hi, s13, vcc_hi
	s_waitcnt vmcnt(0)
	global_store_b128 v[130:131], v[81:84], off glc slc dlc
	s_and_not1_b32 exec_lo, exec_lo, vcc_hi
	s_cbranch_execnz .LBB2_154
; %bb.155:                              ;   in Loop: Header=BB2_63 Depth=2
	s_or_b32 exec_lo, exec_lo, vcc_hi
.LBB2_156:                              ;   in Loop: Header=BB2_63 Depth=2
	s_delay_alu instid0(SALU_CYCLE_1) | instskip(SKIP_3) | instid1(VALU_DEP_1)
	s_or_b32 exec_lo, exec_lo, s26
	v_and_b32_e32 v55, 8, v2
	s_mov_b32 s14, 0
	s_mov_b32 s26, exec_lo
                                        ; implicit-def: $vgpr64
                                        ; implicit-def: $vgpr54
	v_dual_mov_b32 v11, 0 :: v_dual_cndmask_b32 v2, v69, v55
	s_delay_alu instid0(VALU_DEP_1)
	v_cmpx_ne_u32_e32 0, v2
	s_cbranch_execz .LBB2_158
; %bb.157:                              ;   in Loop: Header=BB2_63 Depth=2
	v_cmp_lt_i32_e64 s13, 0, v70
	v_sub_nc_u32_e32 v54, v69, v55
	s_mov_b32 s14, exec_lo
	s_delay_alu instid0(VALU_DEP_2) | instskip(NEXT) | instid1(VALU_DEP_1)
	v_cndmask_b32_e64 v11, 0, v96, s13
	v_sub_nc_u32_e32 v11, v11, v70
	s_delay_alu instid0(VALU_DEP_1) | instskip(NEXT) | instid1(VALU_DEP_1)
	v_lshl_add_u32 v64, v11, 5, v67
	v_ashrrev_i32_e32 v11, 31, v64
	s_delay_alu instid0(VALU_DEP_1) | instskip(NEXT) | instid1(VALU_DEP_1)
	v_lshrrev_b32_e32 v11, 27, v11
	v_add_nc_u32_e32 v55, v64, v11
	v_cndmask_b32_e32 v11, 0, v54, vcc_lo
	s_delay_alu instid0(VALU_DEP_2) | instskip(NEXT) | instid1(VALU_DEP_2)
	v_and_b32_e32 v67, 0xffffffe0, v55
	v_add3_u32 v11, v66, v65, v11
	v_ashrrev_i32_e32 v54, 5, v55
	s_delay_alu instid0(VALU_DEP_3)
	v_sub_nc_u32_e32 v64, v64, v67
.LBB2_158:                              ;   in Loop: Header=BB2_63 Depth=2
	s_or_b32 exec_lo, exec_lo, s26
	s_delay_alu instid0(SALU_CYCLE_1)
	s_and_b32 s13, s14, exec_lo
.LBB2_159:                              ;   in Loop: Header=BB2_63 Depth=2
	s_or_b32 exec_lo, exec_lo, s18
.LBB2_160:                              ;   in Loop: Header=BB2_63 Depth=2
	s_and_saveexec_b32 s18, s13
	s_cbranch_execz .LBB2_172
; %bb.161:                              ;   in Loop: Header=BB2_63 Depth=2
	v_ashrrev_i32_e32 v55, 31, v2
	v_lshlrev_b32_e32 v66, 3, v64
	s_mov_b32 s26, exec_lo
	s_delay_alu instid0(VALU_DEP_2) | instskip(NEXT) | instid1(VALU_DEP_2)
	v_lshrrev_b32_e32 v55, 24, v55
	v_lshl_add_u32 v70, v54, 8, v66
	s_delay_alu instid0(VALU_DEP_2) | instskip(NEXT) | instid1(VALU_DEP_2)
	v_add_nc_u32_e32 v55, v2, v55
	v_sub_nc_u32_e32 v69, v2, v70
	s_delay_alu instid0(VALU_DEP_2) | instskip(SKIP_1) | instid1(VALU_DEP_2)
	v_and_b32_e32 v65, 0xffffff00, v55
	v_ashrrev_i32_e32 v55, 8, v55
	v_sub_nc_u32_e32 v66, v2, v65
	s_delay_alu instid0(VALU_DEP_2) | instskip(NEXT) | instid1(VALU_DEP_2)
	v_sub_nc_u32_e32 v54, v55, v54
	v_cmp_lt_i32_e32 vcc_lo, 7, v66
	s_delay_alu instid0(VALU_DEP_2)
	v_add_co_ci_u32_e64 v67, s13, 0, v54, vcc_lo
	v_cmpx_lt_i32_e32 7, v69
	s_cbranch_execz .LBB2_166
; %bb.162:                              ;   in Loop: Header=BB2_63 Depth=2
	s_cbranch_execnz .LBB2_1599
; %bb.163:                              ;   in Loop: Header=BB2_63 Depth=2
	ds_load_b64 v[54:55], v0
	v_add_nc_u32_e32 v70, v70, v11
	s_mov_b32 vcc_hi, 0
	s_delay_alu instid0(VALU_DEP_1)
	v_ashrrev_i32_e32 v80, 31, v70
.LBB2_164:                              ;   Parent Loop BB2_55 Depth=1
                                        ;     Parent Loop BB2_63 Depth=2
                                        ; =>    This Inner Loop Header: Depth=3
	s_waitcnt lgkmcnt(0)
	v_add_co_u32 v81, s13, v54, v70
	s_delay_alu instid0(VALU_DEP_1)
	v_add_co_ci_u32_e64 v82, s13, v55, v80, s13
	v_sub_nc_u32_e32 v69, v69, v101
	v_add_co_u32 v70, s14, v70, v117
	flat_load_b64 v[83:84], v[81:82] slc dlc
	v_sub_nc_u32_e32 v67, v67, v96
	v_cmp_gt_i32_e64 s13, 8, v69
	v_add_co_ci_u32_e64 v80, s14, v80, v118, s14
	s_delay_alu instid0(VALU_DEP_2)
	s_or_b32 vcc_hi, s13, vcc_hi
	s_waitcnt vmcnt(0) lgkmcnt(0)
	flat_store_b64 v[81:82], v[83:84] glc slc dlc
	s_and_not1_b32 exec_lo, exec_lo, vcc_hi
	s_cbranch_execnz .LBB2_164
; %bb.165:                              ;   in Loop: Header=BB2_63 Depth=2
	s_or_b32 exec_lo, exec_lo, vcc_hi
.LBB2_166:                              ;   in Loop: Header=BB2_63 Depth=2
	s_delay_alu instid0(SALU_CYCLE_1) | instskip(SKIP_2) | instid1(VALU_DEP_1)
	s_or_b32 exec_lo, exec_lo, s26
	v_and_b32_e32 v54, 7, v2
	s_mov_b32 s14, exec_lo
	v_cndmask_b32_e32 v2, v66, v54, vcc_lo
	s_delay_alu instid0(VALU_DEP_1)
	v_cmpx_ne_u32_e32 0, v2
	s_cbranch_execz .LBB2_171
; %bb.167:                              ;   in Loop: Header=BB2_63 Depth=2
	v_cmp_lt_i32_e64 s13, 0, v67
	s_delay_alu instid0(VALU_DEP_1) | instskip(NEXT) | instid1(VALU_DEP_1)
	v_cndmask_b32_e64 v55, 0, v96, s13
	v_sub_nc_u32_e32 v55, v55, v67
	s_delay_alu instid0(VALU_DEP_1) | instskip(NEXT) | instid1(VALU_DEP_1)
	v_lshl_add_u32 v55, v55, 5, v64
	v_ashrrev_i32_e32 v64, 31, v55
	s_delay_alu instid0(VALU_DEP_1) | instskip(NEXT) | instid1(VALU_DEP_1)
	v_lshrrev_b32_e32 v64, 27, v64
	v_add_nc_u32_e32 v64, v55, v64
	s_delay_alu instid0(VALU_DEP_1) | instskip(SKIP_1) | instid1(VALU_DEP_2)
	v_and_b32_e32 v67, 0x1fffffe0, v64
	v_lshlrev_b32_e32 v64, 3, v64
	v_sub_nc_u32_e32 v55, v55, v67
	s_delay_alu instid0(VALU_DEP_2) | instskip(NEXT) | instid1(VALU_DEP_1)
	v_and_b32_e32 v64, 0xffffff00, v64
	v_lshl_add_u32 v64, v55, 3, v64
	s_delay_alu instid0(VALU_DEP_1) | instskip(NEXT) | instid1(VALU_DEP_1)
	v_sub_nc_u32_e32 v2, v2, v64
	v_cmp_lt_i32_e64 s13, 7, v2
	s_delay_alu instid0(VALU_DEP_1)
	s_and_b32 exec_lo, exec_lo, s13
	s_cbranch_execz .LBB2_171
; %bb.168:                              ;   in Loop: Header=BB2_63 Depth=2
	s_cbranch_execnz .LBB2_1661
; %bb.169:                              ;   in Loop: Header=BB2_63 Depth=2
	v_sub_nc_u32_e32 v66, v66, v54
	ds_load_b64 v[54:55], v0
	v_add_nc_u32_e32 v11, v65, v11
	s_mov_b32 s26, 0
	v_cndmask_b32_e32 v65, 0, v66, vcc_lo
	s_delay_alu instid0(VALU_DEP_1) | instskip(NEXT) | instid1(VALU_DEP_1)
	v_add3_u32 v11, v11, v65, v64
	v_ashrrev_i32_e32 v64, 31, v11
.LBB2_170:                              ;   Parent Loop BB2_55 Depth=1
                                        ;     Parent Loop BB2_63 Depth=2
                                        ; =>    This Inner Loop Header: Depth=3
	s_waitcnt lgkmcnt(0)
	v_add_co_u32 v65, vcc_lo, v54, v11
	s_delay_alu instid0(VALU_DEP_2)
	v_add_co_ci_u32_e32 v66, vcc_lo, v55, v64, vcc_lo
	v_sub_nc_u32_e32 v2, v2, v101
	v_add_co_u32 v11, s13, v11, v117
	flat_load_b64 v[69:70], v[65:66] slc dlc
	v_add_co_ci_u32_e64 v64, s13, v64, v118, s13
	v_cmp_gt_i32_e32 vcc_lo, 8, v2
	s_or_b32 s26, vcc_lo, s26
	s_waitcnt vmcnt(0) lgkmcnt(0)
	flat_store_b64 v[65:66], v[69:70] glc slc dlc
	s_and_not1_b32 exec_lo, exec_lo, s26
	s_cbranch_execnz .LBB2_170
.LBB2_171:                              ;   in Loop: Header=BB2_63 Depth=2
	s_or_b32 exec_lo, exec_lo, s14
.LBB2_172:                              ;   in Loop: Header=BB2_63 Depth=2
	s_delay_alu instid0(SALU_CYCLE_1)
	s_or_b32 exec_lo, exec_lo, s18
	s_mov_b32 s18, s17
	s_mov_b32 s14, s37
	;; [unrolled: 1-line block ×5, first 2 shown]
.LBB2_173:                              ;   in Loop: Header=BB2_63 Depth=2
	s_delay_alu instid0(SALU_CYCLE_1)
	s_and_saveexec_b32 s5, s38
	s_cbranch_execz .LBB2_195
; %bb.174:                              ;   in Loop: Header=BB2_63 Depth=2
	s_mov_b32 s10, s37
	s_mov_b32 s17, s36
	;; [unrolled: 1-line block ×3, first 2 shown]
	s_and_saveexec_b32 s26, s4
	s_delay_alu instid0(SALU_CYCLE_1)
	s_xor_b32 s4, exec_lo, s26
	s_cbranch_execz .LBB2_192
; %bb.175:                              ;   in Loop: Header=BB2_63 Depth=2
	s_mov_b32 s26, s1
	s_and_saveexec_b32 vcc_hi, s1
	s_cbranch_execz .LBB2_191
; %bb.176:                              ;   in Loop: Header=BB2_63 Depth=2
	s_mov_b32 s36, exec_lo
	s_mov_b32 s1, exec_lo
	v_mbcnt_lo_u32_b32 v2, s36, 0
	s_waitcnt lgkmcnt(0)
	s_waitcnt_vscnt null, 0x0
	buffer_gl1_inv
	buffer_gl0_inv
	v_cmpx_eq_u32_e32 0, v2
	s_cbranch_execz .LBB2_178
; %bb.177:                              ;   in Loop: Header=BB2_63 Depth=2
	s_bcnt1_i32_b32 vcc_lo, s36
	s_delay_alu instid0(SALU_CYCLE_1)
	v_mov_b32_e32 v2, vcc_lo
	ds_add_u64 v0, v[2:3]
	s_cbranch_execnz .LBB2_1635
.LBB2_178:                              ;   in Loop: Header=BB2_63 Depth=2
	s_or_b32 exec_lo, exec_lo, s1
	s_cbranch_execnz .LBB2_1613
; %bb.179:                              ;   in Loop: Header=BB2_63 Depth=2
	ds_load_b64 v[54:55], v0
	v_add_co_u32 v12, vcc_lo, v12, v96
	v_add_co_ci_u32_e32 v13, vcc_lo, 0, v13, vcc_lo
	s_mov_b32 s1, exec_lo
	s_waitcnt lgkmcnt(0)
	s_delay_alu instid0(VALU_DEP_1)
	v_cmpx_lt_u64_e64 v[54:55], v[12:13]
	s_cbranch_execz .LBB2_190
; %bb.180:                              ;   in Loop: Header=BB2_63 Depth=2
	s_mov_b32 s36, 0
	s_mov_b32 s40, 0
                                        ; implicit-def: $sgpr37
                                        ; implicit-def: $sgpr39
	s_branch .LBB2_182
.LBB2_181:                              ;   in Loop: Header=BB2_182 Depth=3
	s_or_b32 exec_lo, exec_lo, s42
	s_delay_alu instid0(SALU_CYCLE_1) | instskip(NEXT) | instid1(SALU_CYCLE_1)
	s_and_b32 vcc_lo, exec_lo, vcc_lo
	s_or_b32 s36, vcc_lo, s36
	s_and_not1_b32 vcc_lo, s37, exec_lo
	s_and_b32 s37, s39, exec_lo
	s_delay_alu instid0(SALU_CYCLE_1)
	s_or_b32 s37, vcc_lo, s37
	s_and_not1_b32 exec_lo, exec_lo, s36
	s_cbranch_execz .LBB2_188
.LBB2_182:                              ;   Parent Loop BB2_55 Depth=1
                                        ;     Parent Loop BB2_63 Depth=2
                                        ; =>    This Inner Loop Header: Depth=3
	s_add_i32 s40, s40, 1
                                        ; implicit-def: $sgpr42
	s_delay_alu instid0(SALU_CYCLE_1) | instskip(SKIP_1) | instid1(SALU_CYCLE_1)
	s_cmpk_lg_i32 s40, 0x2710
	s_cselect_b32 s41, -1, 0
	s_and_b32 vcc_lo, exec_lo, s41
	s_cbranch_vccz .LBB2_186
.LBB2_183:                              ;   in Loop: Header=BB2_182 Depth=3
	s_and_not1_b32 s39, s39, exec_lo
	s_and_b32 s42, s42, exec_lo
	s_mov_b32 vcc_lo, -1
	s_or_b32 s39, s39, s42
	s_and_saveexec_b32 s42, s41
	s_cbranch_execz .LBB2_181
; %bb.184:                              ;   in Loop: Header=BB2_182 Depth=3
	s_sleep 1
	s_cbranch_execnz .LBB2_1687
; %bb.185:                              ;   in Loop: Header=BB2_182 Depth=3
	ds_load_b64 v[54:55], v0
	s_and_not1_b32 s39, s39, exec_lo
	s_waitcnt lgkmcnt(0)
	v_cmp_ge_u64_e32 vcc_lo, v[54:55], v[12:13]
	s_or_not1_b32 vcc_lo, vcc_lo, exec_lo
	s_branch .LBB2_181
.LBB2_186:                              ;   in Loop: Header=BB2_182 Depth=3
	s_cbranch_execnz .LBB2_1697
; %bb.187:                              ;   in Loop: Header=BB2_182 Depth=3
	ds_load_b64 v[54:55], v0
	s_and_not1_b32 s41, s41, exec_lo
	s_mov_b32 s40, 0
	s_mov_b32 s42, -1
	s_waitcnt lgkmcnt(0)
	flat_load_b32 v2, v[54:55] glc
	s_waitcnt vmcnt(0) lgkmcnt(0)
	buffer_gl1_inv
	buffer_gl0_inv
	v_cmp_eq_u32_e32 vcc_lo, 0, v2
	s_and_b32 vcc_lo, vcc_lo, exec_lo
	s_delay_alu instid0(SALU_CYCLE_1)
	s_or_b32 s41, s41, vcc_lo
	s_branch .LBB2_183
.LBB2_188:                              ;   in Loop: Header=BB2_63 Depth=2
	s_or_b32 exec_lo, exec_lo, s36
	s_and_saveexec_b32 vcc_lo, s37
	s_delay_alu instid0(SALU_CYCLE_1)
	s_xor_b32 vcc_lo, exec_lo, vcc_lo
	s_cbranch_execz .LBB2_190
; %bb.189:                              ;   in Loop: Header=BB2_63 Depth=2
	ds_store_b32 v0, v129
	s_cbranch_execnz .LBB2_1911
.LBB2_190:                              ;   in Loop: Header=BB2_63 Depth=2
	s_or_b32 exec_lo, exec_lo, s1
	;;#ASMSTART
	s_wakeup
	;;#ASMEND
.LBB2_191:                              ;   in Loop: Header=BB2_63 Depth=2
	s_or_b32 exec_lo, exec_lo, vcc_hi
	s_mov_b32 s1, s26
.LBB2_192:                              ;   in Loop: Header=BB2_63 Depth=2
	s_and_not1_saveexec_b32 s4, s4
	s_cbranch_execz .LBB2_194
; %bb.193:                              ;   in Loop: Header=BB2_63 Depth=2
	s_waitcnt lgkmcnt(0)
	s_waitcnt_vscnt null, 0x0
	buffer_gl1_inv
	buffer_gl0_inv
	s_barrier
.LBB2_194:                              ;   in Loop: Header=BB2_63 Depth=2
	s_or_b32 exec_lo, exec_lo, s4
	s_mov_b32 s36, s17
	s_mov_b32 s37, s10
	;; [unrolled: 1-line block ×3, first 2 shown]
.LBB2_195:                              ;   in Loop: Header=BB2_63 Depth=2
	s_or_b32 exec_lo, exec_lo, s5
                                        ; implicit-def: $vgpr2
	s_and_saveexec_b32 s3, s7
	s_delay_alu instid0(SALU_CYCLE_1)
	s_xor_b32 s3, exec_lo, s3
	s_cbranch_execz .LBB2_199
; %bb.196:                              ;   in Loop: Header=BB2_63 Depth=2
	v_and_b32_e32 v2, 16, v30
	s_mov_b32 s5, s13
	v_cmp_lt_i32_e32 vcc_lo, 0, v9
	s_delay_alu instid0(VALU_DEP_2) | instskip(SKIP_1) | instid1(VALU_DEP_2)
	v_cmp_ne_u32_e64 s13, 0, v2
	v_and_b32_e32 v2, 16, v30
	s_and_b32 s13, s13, vcc_lo
	s_delay_alu instid0(SALU_CYCLE_1)
	s_and_saveexec_b32 s10, s13
	s_cbranch_execz .LBB2_198
; %bb.197:                              ;   in Loop: Header=BB2_63 Depth=2
	v_mov_b32_e32 v2, 1
	s_waitcnt lgkmcnt(0)
	s_waitcnt_vscnt null, 0x0
	buffer_gl1_inv
	buffer_gl0_inv
.LBB2_198:                              ;   in Loop: Header=BB2_63 Depth=2
	s_or_b32 exec_lo, exec_lo, s10
	s_mov_b32 s13, s5
.LBB2_199:                              ;   in Loop: Header=BB2_63 Depth=2
	s_and_not1_saveexec_b32 s5, s3
	s_cbranch_execz .LBB2_221
; %bb.200:                              ;   in Loop: Header=BB2_63 Depth=2
	s_mov_b32 s10, s37
	s_mov_b32 s17, s36
	;; [unrolled: 1-line block ×3, first 2 shown]
	s_and_saveexec_b32 s26, s4
	s_delay_alu instid0(SALU_CYCLE_1)
	s_xor_b32 s4, exec_lo, s26
	s_cbranch_execz .LBB2_218
; %bb.201:                              ;   in Loop: Header=BB2_63 Depth=2
	s_and_saveexec_b32 s26, s1
	s_cbranch_execz .LBB2_217
; %bb.202:                              ;   in Loop: Header=BB2_63 Depth=2
	s_mov_b32 s36, exec_lo
	s_mov_b32 vcc_hi, exec_lo
	v_mbcnt_lo_u32_b32 v2, s36, 0
	;;#ASMSTART
	s_waitcnt lgkmcnt(0) vmcnt(0)
	;;#ASMEND
	s_delay_alu instid0(VALU_DEP_1)
	v_cmpx_eq_u32_e32 0, v2
	s_cbranch_execz .LBB2_204
; %bb.203:                              ;   in Loop: Header=BB2_63 Depth=2
	s_bcnt1_i32_b32 vcc_lo, s36
	s_delay_alu instid0(SALU_CYCLE_1)
	v_mov_b32_e32 v2, vcc_lo
	ds_add_u64 v0, v[2:3]
	s_cbranch_execnz .LBB2_1643
.LBB2_204:                              ;   in Loop: Header=BB2_63 Depth=2
	s_or_b32 exec_lo, exec_lo, vcc_hi
	s_cbranch_execnz .LBB2_1619
; %bb.205:                              ;   in Loop: Header=BB2_63 Depth=2
	ds_load_b64 v[54:55], v0
	v_add_co_u32 v12, vcc_lo, v12, v96
	v_add_co_ci_u32_e32 v13, vcc_lo, 0, v13, vcc_lo
	s_mov_b32 vcc_hi, exec_lo
	s_waitcnt lgkmcnt(0)
	s_delay_alu instid0(VALU_DEP_1)
	v_cmpx_lt_u64_e64 v[54:55], v[12:13]
	s_cbranch_execz .LBB2_216
; %bb.206:                              ;   in Loop: Header=BB2_63 Depth=2
	s_mov_b32 s36, 0
	s_mov_b32 s40, 0
                                        ; implicit-def: $sgpr37
                                        ; implicit-def: $sgpr39
	s_branch .LBB2_208
.LBB2_207:                              ;   in Loop: Header=BB2_208 Depth=3
	s_or_b32 exec_lo, exec_lo, s42
	s_delay_alu instid0(SALU_CYCLE_1) | instskip(NEXT) | instid1(SALU_CYCLE_1)
	s_and_b32 vcc_lo, exec_lo, vcc_lo
	s_or_b32 s36, vcc_lo, s36
	s_and_not1_b32 vcc_lo, s37, exec_lo
	s_and_b32 s37, s39, exec_lo
	s_delay_alu instid0(SALU_CYCLE_1)
	s_or_b32 s37, vcc_lo, s37
	s_and_not1_b32 exec_lo, exec_lo, s36
	s_cbranch_execz .LBB2_214
.LBB2_208:                              ;   Parent Loop BB2_55 Depth=1
                                        ;     Parent Loop BB2_63 Depth=2
                                        ; =>    This Inner Loop Header: Depth=3
	s_add_i32 s40, s40, 1
                                        ; implicit-def: $sgpr42
	s_delay_alu instid0(SALU_CYCLE_1) | instskip(SKIP_1) | instid1(SALU_CYCLE_1)
	s_cmpk_lg_i32 s40, 0x2710
	s_cselect_b32 s41, -1, 0
	s_and_b32 vcc_lo, exec_lo, s41
	s_cbranch_vccz .LBB2_212
.LBB2_209:                              ;   in Loop: Header=BB2_208 Depth=3
	s_and_not1_b32 s39, s39, exec_lo
	s_and_b32 s42, s42, exec_lo
	s_mov_b32 vcc_lo, -1
	s_or_b32 s39, s39, s42
	s_and_saveexec_b32 s42, s41
	s_cbranch_execz .LBB2_207
; %bb.210:                              ;   in Loop: Header=BB2_208 Depth=3
	s_sleep 1
	s_cbranch_execnz .LBB2_1691
; %bb.211:                              ;   in Loop: Header=BB2_208 Depth=3
	ds_load_b64 v[54:55], v0
	s_and_not1_b32 s39, s39, exec_lo
	s_waitcnt lgkmcnt(0)
	v_cmp_ge_u64_e32 vcc_lo, v[54:55], v[12:13]
	s_or_not1_b32 vcc_lo, vcc_lo, exec_lo
	s_branch .LBB2_207
.LBB2_212:                              ;   in Loop: Header=BB2_208 Depth=3
	s_cbranch_execnz .LBB2_1711
; %bb.213:                              ;   in Loop: Header=BB2_208 Depth=3
	ds_load_b64 v[54:55], v0
	s_and_not1_b32 s41, s41, exec_lo
	s_mov_b32 s40, 0
	s_mov_b32 s42, -1
	s_waitcnt lgkmcnt(0)
	s_waitcnt_vscnt null, 0x0
	flat_load_b32 v2, v[54:55] glc
	s_waitcnt vmcnt(0) lgkmcnt(0)
	buffer_gl1_inv
	buffer_gl0_inv
	v_cmp_eq_u32_e32 vcc_lo, 0, v2
	s_and_b32 vcc_lo, vcc_lo, exec_lo
	s_delay_alu instid0(SALU_CYCLE_1)
	s_or_b32 s41, s41, vcc_lo
	s_branch .LBB2_209
.LBB2_214:                              ;   in Loop: Header=BB2_63 Depth=2
	s_or_b32 exec_lo, exec_lo, s36
	s_and_saveexec_b32 vcc_lo, s37
	s_delay_alu instid0(SALU_CYCLE_1)
	s_xor_b32 vcc_lo, exec_lo, vcc_lo
	s_cbranch_execz .LBB2_216
; %bb.215:                              ;   in Loop: Header=BB2_63 Depth=2
	ds_store_b32 v0, v129
	s_cbranch_execnz .LBB2_1915
.LBB2_216:                              ;   in Loop: Header=BB2_63 Depth=2
	s_or_b32 exec_lo, exec_lo, vcc_hi
	;;#ASMSTART
	s_wakeup
	;;#ASMEND
.LBB2_217:                              ;   in Loop: Header=BB2_63 Depth=2
	s_or_b32 exec_lo, exec_lo, s26
.LBB2_218:                              ;   in Loop: Header=BB2_63 Depth=2
	s_and_not1_saveexec_b32 s4, s4
	s_cbranch_execz .LBB2_220
; %bb.219:                              ;   in Loop: Header=BB2_63 Depth=2
	;;#ASMSTART
	s_waitcnt lgkmcnt(0) vmcnt(0)
	;;#ASMEND
	s_waitcnt lgkmcnt(0)
	s_waitcnt_vscnt null, 0x0
	s_barrier
.LBB2_220:                              ;   in Loop: Header=BB2_63 Depth=2
	s_or_b32 exec_lo, exec_lo, s4
	v_and_b32_e32 v2, 16, v30
	s_mov_b32 s36, s17
	s_mov_b32 s37, s10
	s_mov_b32 s4, s3
.LBB2_221:                              ;   in Loop: Header=BB2_63 Depth=2
	s_or_b32 exec_lo, exec_lo, s5
	s_delay_alu instid0(SALU_CYCLE_1)
	s_mov_b32 s3, exec_lo
	v_cmpx_ne_u32_e32 0, v2
	s_cbranch_execz .LBB2_225
; %bb.222:                              ;   in Loop: Header=BB2_63 Depth=2
	s_and_saveexec_b32 s5, s11
	s_cbranch_execz .LBB2_224
; %bb.223:                              ;   in Loop: Header=BB2_63 Depth=2
	s_waitcnt lgkmcnt(0)
	s_waitcnt_vscnt null, 0x0
	flat_store_b32 v[26:27], v129
.LBB2_224:                              ;   in Loop: Header=BB2_63 Depth=2
	s_or_b32 exec_lo, exec_lo, s5
	v_add_co_u32 v22, vcc_lo, v22, 2
	v_add_co_ci_u32_e32 v23, vcc_lo, 0, v23, vcc_lo
	s_waitcnt lgkmcnt(0)
	s_waitcnt_vscnt null, 0x0
	flat_store_b64 v[20:21], v[22:23]
.LBB2_225:                              ;   in Loop: Header=BB2_63 Depth=2
	s_or_b32 exec_lo, exec_lo, s3
	v_add_nc_u32_e32 v10, v8, v10
	s_xor_b32 s3, s21, -1
	v_mov_b32_e32 v2, s13
	s_mov_b32 s21, 0
	s_mov_b32 s13, 2
	v_cmp_ge_i32_e32 vcc_lo, v10, v68
	s_or_b32 s3, s3, vcc_lo
	s_delay_alu instid0(SALU_CYCLE_1) | instskip(NEXT) | instid1(SALU_CYCLE_1)
	s_and_b32 s3, exec_lo, s3
	s_or_b32 s20, s3, s20
	s_delay_alu instid0(SALU_CYCLE_1)
	s_and_not1_b32 exec_lo, exec_lo, s20
	s_cbranch_execnz .LBB2_63
; %bb.226:                              ;   in Loop: Header=BB2_55 Depth=1
	s_or_b32 exec_lo, exec_lo, s20
	s_mov_b32 s21, s12
.LBB2_227:                              ;   in Loop: Header=BB2_55 Depth=1
	s_or_b32 exec_lo, exec_lo, s15
	s_delay_alu instid0(SALU_CYCLE_1)
	s_mov_b32 s12, exec_lo
	v_cmpx_gt_i32_e32 2, v2
	s_cbranch_execz .LBB2_310
; %bb.228:                              ;   in Loop: Header=BB2_55 Depth=1
	v_cmp_eq_u32_e64 s5, 0, v2
	s_mov_b32 s15, 0
.LBB2_229:                              ;   Parent Loop BB2_55 Depth=1
                                        ; =>  This Loop Header: Depth=2
                                        ;       Child Loop BB2_235 Depth 3
                                        ;       Child Loop BB2_264 Depth 3
                                        ;       Child Loop BB2_291 Depth 3
	v_and_b32_e32 v2, 8, v30
	s_mov_b32 s10, -1
	s_mov_b32 s3, exec_lo
	s_delay_alu instid0(VALU_DEP_1)
	v_cmpx_ne_u32_e32 0, v2
	s_cbranch_execz .LBB2_243
; %bb.230:                              ;   in Loop: Header=BB2_229 Depth=2
	v_add_co_u32 v54, vcc_lo, v28, 8
	v_add_co_ci_u32_e32 v55, vcc_lo, 0, v29, vcc_lo
	v_add_co_u32 v52, vcc_lo, v22, 2
	v_add_co_ci_u32_e32 v53, vcc_lo, 0, v23, vcc_lo
	v_mov_b32_e32 v2, 1
	s_mov_b32 s10, exec_lo
	s_delay_alu instid0(VALU_DEP_2)
	v_cmpx_lt_u64_e64 v[54:55], v[52:53]
	s_cbranch_execz .LBB2_242
; %bb.231:                              ;   in Loop: Header=BB2_229 Depth=2
	v_mov_b32_e32 v2, 0
	s_mov_b32 s13, 0
                                        ; implicit-def: $sgpr17
	s_branch .LBB2_235
.LBB2_232:                              ;   in Loop: Header=BB2_235 Depth=3
	s_or_b32 exec_lo, exec_lo, s39
	v_mov_b32_e32 v9, 0
	s_or_not1_b32 vcc_hi, vcc_hi, exec_lo
.LBB2_233:                              ;   in Loop: Header=BB2_235 Depth=3
	s_or_b32 exec_lo, exec_lo, s26
	s_delay_alu instid0(VALU_DEP_1) | instskip(SKIP_2) | instid1(SALU_CYCLE_1)
	v_mov_b32_e32 v2, v9
	s_and_not1_b32 s17, s17, exec_lo
	s_and_b32 s26, vcc_hi, exec_lo
	s_or_b32 s17, s17, s26
.LBB2_234:                              ;   in Loop: Header=BB2_235 Depth=3
	s_or_b32 exec_lo, exec_lo, s20
	s_waitcnt vmcnt(0) lgkmcnt(0)
	v_add_co_u32 v54, vcc_lo, v28, 8
	v_add_co_ci_u32_e32 v55, vcc_lo, 0, v29, vcc_lo
	s_xor_b32 s20, s17, -1
	s_delay_alu instid0(VALU_DEP_1) | instskip(SKIP_1) | instid1(SALU_CYCLE_1)
	v_cmp_ge_u64_e32 vcc_lo, v[54:55], v[52:53]
	s_or_b32 s20, s20, vcc_lo
	s_and_b32 s20, exec_lo, s20
	s_delay_alu instid0(SALU_CYCLE_1) | instskip(NEXT) | instid1(SALU_CYCLE_1)
	s_or_b32 s13, s20, s13
	s_and_not1_b32 exec_lo, exec_lo, s13
	s_cbranch_execz .LBB2_241
.LBB2_235:                              ;   Parent Loop BB2_55 Depth=1
                                        ;     Parent Loop BB2_229 Depth=2
                                        ; =>    This Inner Loop Header: Depth=3
	s_sleep 1
	flat_load_b64 v[28:29], v[20:21] glc
	v_and_b32_e32 v9, 64, v30
	s_and_not1_b32 s17, s17, exec_lo
	s_mov_b32 s20, exec_lo
	s_delay_alu instid0(VALU_DEP_1)
	v_cmpx_eq_u32_e32 0, v9
	s_cbranch_execz .LBB2_234
; %bb.236:                              ;   in Loop: Header=BB2_235 Depth=3
	v_add_nc_u32_e32 v9, 1, v2
	s_mov_b32 vcc_hi, -1
	s_mov_b32 s26, exec_lo
	v_cmpx_lt_i32_e32 0x270e, v2
	s_cbranch_execz .LBB2_233
; %bb.237:                              ;   in Loop: Header=BB2_235 Depth=3
	s_cbranch_execnz .LBB2_1518
; %bb.238:                              ;   in Loop: Header=BB2_235 Depth=3
	ds_load_b64 v[54:55], v0
	s_mov_b32 s39, exec_lo
	s_waitcnt vmcnt(0) lgkmcnt(0)
	s_waitcnt_vscnt null, 0x0
	flat_load_b32 v2, v[54:55] glc
	s_waitcnt vmcnt(0) lgkmcnt(0)
	buffer_gl1_inv
	buffer_gl0_inv
	v_cmpx_ne_u32_e32 0, v2
	s_cbranch_execz .LBB2_232
; %bb.239:                              ;   in Loop: Header=BB2_235 Depth=3
	ds_store_b32 v0, v2
	s_cbranch_execnz .LBB2_1530
; %bb.240:                              ;   in Loop: Header=BB2_235 Depth=3
	v_or_b32_e32 v30, 64, v30
	s_xor_b32 vcc_hi, exec_lo, -1
	s_branch .LBB2_232
.LBB2_241:                              ;   in Loop: Header=BB2_229 Depth=2
	s_or_b32 exec_lo, exec_lo, s13
	v_and_b32_e32 v2, 8, v30
.LBB2_242:                              ;   in Loop: Header=BB2_229 Depth=2
	s_or_b32 exec_lo, exec_lo, s10
	s_delay_alu instid0(VALU_DEP_1)
	v_cmp_eq_u32_e32 vcc_lo, 0, v2
	;;#ASMSTART
	s_wakeup
	;;#ASMEND
	s_or_not1_b32 s10, vcc_lo, exec_lo
.LBB2_243:                              ;   in Loop: Header=BB2_229 Depth=2
	s_or_b32 exec_lo, exec_lo, s3
	v_sub_nc_u32_e32 v2, v68, v10
	s_xor_b32 s3, s5, -1
	s_delay_alu instid0(SALU_CYCLE_1) | instskip(NEXT) | instid1(SALU_CYCLE_1)
	s_and_b32 s3, exec_lo, s3
	s_or_b32 s15, s3, s15
	s_delay_alu instid0(VALU_DEP_1) | instskip(SKIP_1) | instid1(SALU_CYCLE_1)
	v_min_i32_e32 v8, v8, v2
	s_xor_b32 s5, s10, -1
	s_and_saveexec_b32 s3, s5
	s_cbranch_execz .LBB2_253
; %bb.244:                              ;   in Loop: Header=BB2_229 Depth=2
	v_and_b32_e32 v2, 0x100, v30
	v_and_b32_e32 v52, 7, v22
	s_mov_b32 s10, 0
	s_mov_b32 s5, exec_lo
                                        ; implicit-def: $vgpr54_vgpr55
	s_delay_alu instid0(VALU_DEP_2)
	v_cmpx_ne_u32_e32 0, v2
	s_xor_b32 s5, exec_lo, s5
	s_cbranch_execz .LBB2_261
; %bb.245:                              ;   in Loop: Header=BB2_229 Depth=2
	v_mad_u64_u32 v[64:65], null, v52, 24, v[6:7]
	v_ashrrev_i32_e32 v9, 31, v8
	s_mov_b32 s10, -1
	s_mov_b32 s13, exec_lo
	s_delay_alu instid0(VALU_DEP_1)
	v_lshlrev_b64 v[53:54], 3, v[8:9]
	flat_load_b32 v2, v[64:65]
	flat_store_b64 v[64:65], v[53:54] offset:8
                                        ; implicit-def: $vgpr54_vgpr55
	s_waitcnt vmcnt(0) lgkmcnt(1)
	v_cmpx_eq_u32_e32 1, v2
	s_cbranch_execz .LBB2_247
; %bb.246:                              ;   in Loop: Header=BB2_229 Depth=2
	flat_load_b32 v52, v[64:65] offset:4 glc
	s_xor_b32 s10, exec_lo, -1
	s_waitcnt vmcnt(0) lgkmcnt(0)
	v_ashrrev_i32_e32 v53, 31, v52
	s_delay_alu instid0(VALU_DEP_1)
	v_lshrrev_b64 v[54:55], 3, v[52:53]
                                        ; implicit-def: $vgpr52_vgpr53
.LBB2_247:                              ;   in Loop: Header=BB2_229 Depth=2
	s_or_b32 exec_lo, exec_lo, s13
	s_delay_alu instid0(SALU_CYCLE_1)
	s_and_b32 s10, s10, exec_lo
	s_and_not1_saveexec_b32 s5, s5
	s_cbranch_execnz .LBB2_262
.LBB2_248:                              ;   in Loop: Header=BB2_229 Depth=2
	s_or_b32 exec_lo, exec_lo, s5
	s_and_saveexec_b32 s5, s10
.LBB2_249:                              ;   in Loop: Header=BB2_229 Depth=2
	v_mul_lo_u32 v2, v3, v86
	v_mul_lo_u32 v9, v52, v87
	v_mad_u64_u32 v[54:55], null, v52, v86, 0
	s_delay_alu instid0(VALU_DEP_1)
	v_add3_u32 v55, v55, v9, v2
.LBB2_250:                              ;   in Loop: Header=BB2_229 Depth=2
	s_or_b32 exec_lo, exec_lo, s5
	s_delay_alu instid0(VALU_DEP_1) | instskip(SKIP_2) | instid1(VALU_DEP_2)
	v_lshlrev_b64 v[52:53], 3, v[54:55]
	v_and_b32_e32 v2, 0x2000, v30
	s_mov_b32 s5, exec_lo
	v_add_co_u32 v52, vcc_lo, v24, v52
	s_delay_alu instid0(VALU_DEP_3)
	v_add_co_ci_u32_e32 v53, vcc_lo, v25, v53, vcc_lo
	ds_store_b64 v0, v[52:53] offset:784
	v_cmpx_ne_u32_e32 0, v2
	s_cbranch_execz .LBB2_252
; %bb.251:                              ;   in Loop: Header=BB2_229 Depth=2
	ds_load_b64 v[52:53], v0 offset:584
	s_waitcnt lgkmcnt(0)
	v_add_co_u32 v52, vcc_lo, v52, 1
	v_add_co_ci_u32_e32 v53, vcc_lo, 0, v53, vcc_lo
	ds_store_b64 v0, v[52:53] offset:584
.LBB2_252:                              ;   in Loop: Header=BB2_229 Depth=2
	s_or_b32 exec_lo, exec_lo, s5
	v_add_co_u32 v22, vcc_lo, v22, 2
	v_add_co_ci_u32_e32 v23, vcc_lo, 0, v23, vcc_lo
.LBB2_253:                              ;   in Loop: Header=BB2_229 Depth=2
	s_or_b32 exec_lo, exec_lo, s3
	s_and_saveexec_b32 s5, s38
	s_cbranch_execz .LBB2_277
; %bb.254:                              ;   in Loop: Header=BB2_229 Depth=2
	s_and_saveexec_b32 s3, s4
	s_delay_alu instid0(SALU_CYCLE_1)
	s_xor_b32 s3, exec_lo, s3
	s_cbranch_execz .LBB2_274
; %bb.255:                              ;   in Loop: Header=BB2_229 Depth=2
	s_and_saveexec_b32 s10, s1
	s_cbranch_execz .LBB2_273
; %bb.256:                              ;   in Loop: Header=BB2_229 Depth=2
	s_mov_b32 s13, exec_lo
	s_mov_b32 s26, exec_lo
	v_mbcnt_lo_u32_b32 v2, s13, 0
	s_waitcnt lgkmcnt(0)
	s_waitcnt_vscnt null, 0x0
	buffer_gl1_inv
	buffer_gl0_inv
	v_cmpx_eq_u32_e32 0, v2
	s_cbranch_execz .LBB2_258
; %bb.257:                              ;   in Loop: Header=BB2_229 Depth=2
	s_bcnt1_i32_b32 s13, s13
	s_delay_alu instid0(SALU_CYCLE_1)
	v_mov_b32_e32 v2, s13
	ds_add_u64 v0, v[2:3]
	s_cbranch_execnz .LBB2_1561
.LBB2_258:                              ;   in Loop: Header=BB2_229 Depth=2
	s_or_b32 exec_lo, exec_lo, s26
	s_cbranch_execnz .LBB2_1543
; %bb.259:                              ;   in Loop: Header=BB2_229 Depth=2
	ds_load_b64 v[52:53], v0
	v_add_co_u32 v12, vcc_lo, v12, v96
	v_add_co_ci_u32_e32 v13, vcc_lo, 0, v13, vcc_lo
	s_mov_b32 s13, s38
	s_mov_b32 s17, s37
	s_mov_b32 s20, s36
	s_mov_b32 s26, exec_lo
	s_waitcnt lgkmcnt(0)
	v_cmpx_lt_u64_e64 v[52:53], v[12:13]
	s_cbranch_execz .LBB2_272
; %bb.260:                              ;   in Loop: Header=BB2_229 Depth=2
	s_mov_b32 vcc_hi, 0
	s_mov_b32 s38, 0
                                        ; implicit-def: $sgpr36
                                        ; implicit-def: $sgpr37
	s_branch .LBB2_264
.LBB2_261:                              ;   in Loop: Header=BB2_229 Depth=2
	s_and_not1_saveexec_b32 s5, s5
	s_cbranch_execz .LBB2_248
.LBB2_262:                              ;   in Loop: Header=BB2_229 Depth=2
	s_or_b32 s10, s10, exec_lo
                                        ; implicit-def: $vgpr54_vgpr55
	s_or_b32 exec_lo, exec_lo, s5
	s_and_saveexec_b32 s5, s10
	s_cbranch_execnz .LBB2_249
	s_branch .LBB2_250
.LBB2_263:                              ;   in Loop: Header=BB2_264 Depth=3
	s_or_b32 exec_lo, exec_lo, s40
	s_delay_alu instid0(SALU_CYCLE_1) | instskip(NEXT) | instid1(SALU_CYCLE_1)
	s_and_b32 vcc_lo, exec_lo, vcc_lo
	s_or_b32 vcc_hi, vcc_lo, vcc_hi
	s_and_not1_b32 vcc_lo, s36, exec_lo
	s_and_b32 s36, s37, exec_lo
	s_delay_alu instid0(SALU_CYCLE_1)
	s_or_b32 s36, vcc_lo, s36
	s_and_not1_b32 exec_lo, exec_lo, vcc_hi
	s_cbranch_execz .LBB2_270
.LBB2_264:                              ;   Parent Loop BB2_55 Depth=1
                                        ;     Parent Loop BB2_229 Depth=2
                                        ; =>    This Inner Loop Header: Depth=3
	s_add_i32 s38, s38, 1
                                        ; implicit-def: $sgpr40
	s_delay_alu instid0(SALU_CYCLE_1) | instskip(SKIP_1) | instid1(SALU_CYCLE_1)
	s_cmpk_lg_i32 s38, 0x2710
	s_cselect_b32 s39, -1, 0
	s_and_b32 vcc_lo, exec_lo, s39
	s_cbranch_vccz .LBB2_268
.LBB2_265:                              ;   in Loop: Header=BB2_264 Depth=3
	s_and_not1_b32 s37, s37, exec_lo
	s_and_b32 s40, s40, exec_lo
	s_mov_b32 vcc_lo, -1
	s_or_b32 s37, s37, s40
	s_and_saveexec_b32 s40, s39
	s_cbranch_execz .LBB2_263
; %bb.266:                              ;   in Loop: Header=BB2_264 Depth=3
	s_sleep 1
	s_cbranch_execnz .LBB2_1591
; %bb.267:                              ;   in Loop: Header=BB2_264 Depth=3
	ds_load_b64 v[52:53], v0
	s_and_not1_b32 s37, s37, exec_lo
	s_waitcnt lgkmcnt(0)
	v_cmp_ge_u64_e32 vcc_lo, v[52:53], v[12:13]
	s_or_not1_b32 vcc_lo, vcc_lo, exec_lo
	s_branch .LBB2_263
.LBB2_268:                              ;   in Loop: Header=BB2_264 Depth=3
	s_cbranch_execnz .LBB2_1597
; %bb.269:                              ;   in Loop: Header=BB2_264 Depth=3
	ds_load_b64 v[52:53], v0
	s_and_not1_b32 s39, s39, exec_lo
	s_mov_b32 s38, 0
	s_mov_b32 s40, -1
	s_waitcnt lgkmcnt(0)
	flat_load_b32 v2, v[52:53] glc
	s_waitcnt vmcnt(0) lgkmcnt(0)
	buffer_gl1_inv
	buffer_gl0_inv
	v_cmp_eq_u32_e32 vcc_lo, 0, v2
	s_and_b32 vcc_lo, vcc_lo, exec_lo
	s_delay_alu instid0(SALU_CYCLE_1)
	s_or_b32 s39, s39, vcc_lo
	s_branch .LBB2_265
.LBB2_270:                              ;   in Loop: Header=BB2_229 Depth=2
	s_or_b32 exec_lo, exec_lo, vcc_hi
	s_and_saveexec_b32 vcc_lo, s36
	s_delay_alu instid0(SALU_CYCLE_1)
	s_xor_b32 vcc_lo, exec_lo, vcc_lo
	s_cbranch_execz .LBB2_272
; %bb.271:                              ;   in Loop: Header=BB2_229 Depth=2
	ds_store_b32 v0, v129
	s_cbranch_execnz .LBB2_1809
.LBB2_272:                              ;   in Loop: Header=BB2_229 Depth=2
	s_or_b32 exec_lo, exec_lo, s26
	s_mov_b32 s36, s20
	s_mov_b32 s37, s17
	;; [unrolled: 1-line block ×3, first 2 shown]
	;;#ASMSTART
	s_wakeup
	;;#ASMEND
.LBB2_273:                              ;   in Loop: Header=BB2_229 Depth=2
	s_or_b32 exec_lo, exec_lo, s10
.LBB2_274:                              ;   in Loop: Header=BB2_229 Depth=2
	s_and_not1_saveexec_b32 s3, s3
	s_cbranch_execz .LBB2_276
; %bb.275:                              ;   in Loop: Header=BB2_229 Depth=2
	s_waitcnt lgkmcnt(0)
	s_waitcnt_vscnt null, 0x0
	buffer_gl1_inv
	buffer_gl0_inv
	s_barrier
.LBB2_276:                              ;   in Loop: Header=BB2_229 Depth=2
	s_or_b32 exec_lo, exec_lo, s3
.LBB2_277:                              ;   in Loop: Header=BB2_229 Depth=2
	s_delay_alu instid0(SALU_CYCLE_1) | instskip(SKIP_1) | instid1(SALU_CYCLE_1)
	s_or_b32 exec_lo, exec_lo, s5
                                        ; implicit-def: $vgpr2
	s_and_saveexec_b32 s3, s7
	s_xor_b32 s3, exec_lo, s3
	s_cbranch_execz .LBB2_282
; %bb.278:                              ;   in Loop: Header=BB2_229 Depth=2
	s_cbranch_execnz .LBB2_1516
; %bb.279:                              ;   in Loop: Header=BB2_229 Depth=2
	ds_load_b32 v2, v0
	v_cmp_lt_i32_e32 vcc_lo, 0, v8
	s_waitcnt lgkmcnt(0)
	v_readfirstlane_b32 s5, v2
	v_and_b32_e32 v2, 16, v30
	s_delay_alu instid0(VALU_DEP_2) | instskip(NEXT) | instid1(VALU_DEP_1)
	s_cmp_eq_u32 s5, 0
	v_cmp_ne_u32_e64 s13, 0, v2
	s_cselect_b32 s5, -1, 0
	v_and_b32_e32 v2, 16, v30
	s_and_b32 s5, vcc_lo, s5
	s_delay_alu instid0(VALU_DEP_2) | instid1(SALU_CYCLE_1)
	s_and_b32 s10, s13, s5
	s_delay_alu instid0(SALU_CYCLE_1)
	s_and_saveexec_b32 s5, s10
	s_cbranch_execz .LBB2_281
; %bb.280:                              ;   in Loop: Header=BB2_229 Depth=2
	v_mov_b32_e32 v2, 1
	s_waitcnt_vscnt null, 0x0
	buffer_gl1_inv
	buffer_gl0_inv
.LBB2_281:                              ;   in Loop: Header=BB2_229 Depth=2
	s_or_b32 exec_lo, exec_lo, s5
.LBB2_282:                              ;   in Loop: Header=BB2_229 Depth=2
	s_and_not1_saveexec_b32 s5, s3
	s_cbranch_execz .LBB2_304
; %bb.283:                              ;   in Loop: Header=BB2_229 Depth=2
	s_and_saveexec_b32 s3, s4
	s_delay_alu instid0(SALU_CYCLE_1)
	s_xor_b32 s3, exec_lo, s3
	s_cbranch_execz .LBB2_301
; %bb.284:                              ;   in Loop: Header=BB2_229 Depth=2
	s_and_saveexec_b32 s10, s1
	s_cbranch_execz .LBB2_300
; %bb.285:                              ;   in Loop: Header=BB2_229 Depth=2
	s_mov_b32 vcc_hi, exec_lo
	s_mov_b32 s13, s38
	v_mbcnt_lo_u32_b32 v2, vcc_hi, 0
	s_mov_b32 s17, s37
	s_mov_b32 s20, s36
	s_mov_b32 s26, exec_lo
	;;#ASMSTART
	s_waitcnt lgkmcnt(0) vmcnt(0)
	;;#ASMEND
	v_cmpx_eq_u32_e32 0, v2
	s_cbranch_execz .LBB2_287
; %bb.286:                              ;   in Loop: Header=BB2_229 Depth=2
	s_bcnt1_i32_b32 vcc_lo, vcc_hi
	s_delay_alu instid0(SALU_CYCLE_1)
	v_mov_b32_e32 v2, vcc_lo
	ds_add_u64 v0, v[2:3]
	s_cbranch_execnz .LBB2_1579
.LBB2_287:                              ;   in Loop: Header=BB2_229 Depth=2
	s_or_b32 exec_lo, exec_lo, s26
	s_cbranch_execnz .LBB2_1559
; %bb.288:                              ;   in Loop: Header=BB2_229 Depth=2
	ds_load_b64 v[52:53], v0
	v_add_co_u32 v12, vcc_lo, v12, v96
	v_add_co_ci_u32_e32 v13, vcc_lo, 0, v13, vcc_lo
	s_mov_b32 s26, exec_lo
	s_waitcnt lgkmcnt(0)
	s_delay_alu instid0(VALU_DEP_1)
	v_cmpx_lt_u64_e64 v[52:53], v[12:13]
	s_cbranch_execz .LBB2_299
; %bb.289:                              ;   in Loop: Header=BB2_229 Depth=2
	s_mov_b32 vcc_hi, 0
	s_mov_b32 s38, 0
                                        ; implicit-def: $sgpr36
                                        ; implicit-def: $sgpr37
	s_branch .LBB2_291
.LBB2_290:                              ;   in Loop: Header=BB2_291 Depth=3
	s_or_b32 exec_lo, exec_lo, s40
	s_delay_alu instid0(SALU_CYCLE_1) | instskip(NEXT) | instid1(SALU_CYCLE_1)
	s_and_b32 vcc_lo, exec_lo, vcc_lo
	s_or_b32 vcc_hi, vcc_lo, vcc_hi
	s_and_not1_b32 vcc_lo, s36, exec_lo
	s_and_b32 s36, s37, exec_lo
	s_delay_alu instid0(SALU_CYCLE_1)
	s_or_b32 s36, vcc_lo, s36
	s_and_not1_b32 exec_lo, exec_lo, vcc_hi
	s_cbranch_execz .LBB2_297
.LBB2_291:                              ;   Parent Loop BB2_55 Depth=1
                                        ;     Parent Loop BB2_229 Depth=2
                                        ; =>    This Inner Loop Header: Depth=3
	s_add_i32 s38, s38, 1
                                        ; implicit-def: $sgpr40
	s_delay_alu instid0(SALU_CYCLE_1) | instskip(SKIP_1) | instid1(SALU_CYCLE_1)
	s_cmpk_lg_i32 s38, 0x2710
	s_cselect_b32 s39, -1, 0
	s_and_b32 vcc_lo, exec_lo, s39
	s_cbranch_vccz .LBB2_295
.LBB2_292:                              ;   in Loop: Header=BB2_291 Depth=3
	s_and_not1_b32 s37, s37, exec_lo
	s_and_b32 s40, s40, exec_lo
	s_mov_b32 vcc_lo, -1
	s_or_b32 s37, s37, s40
	s_and_saveexec_b32 s40, s39
	s_cbranch_execz .LBB2_290
; %bb.293:                              ;   in Loop: Header=BB2_291 Depth=3
	s_sleep 1
	s_cbranch_execnz .LBB2_1603
; %bb.294:                              ;   in Loop: Header=BB2_291 Depth=3
	ds_load_b64 v[52:53], v0
	s_and_not1_b32 s37, s37, exec_lo
	s_waitcnt lgkmcnt(0)
	v_cmp_ge_u64_e32 vcc_lo, v[52:53], v[12:13]
	s_or_not1_b32 vcc_lo, vcc_lo, exec_lo
	s_branch .LBB2_290
.LBB2_295:                              ;   in Loop: Header=BB2_291 Depth=3
	s_cbranch_execnz .LBB2_1615
; %bb.296:                              ;   in Loop: Header=BB2_291 Depth=3
	ds_load_b64 v[52:53], v0
	s_and_not1_b32 s39, s39, exec_lo
	s_mov_b32 s38, 0
	s_mov_b32 s40, -1
	s_waitcnt lgkmcnt(0)
	s_waitcnt_vscnt null, 0x0
	flat_load_b32 v2, v[52:53] glc
	s_waitcnt vmcnt(0) lgkmcnt(0)
	buffer_gl1_inv
	buffer_gl0_inv
	v_cmp_eq_u32_e32 vcc_lo, 0, v2
	s_and_b32 vcc_lo, vcc_lo, exec_lo
	s_delay_alu instid0(SALU_CYCLE_1)
	s_or_b32 s39, s39, vcc_lo
	s_branch .LBB2_292
.LBB2_297:                              ;   in Loop: Header=BB2_229 Depth=2
	s_or_b32 exec_lo, exec_lo, vcc_hi
	s_and_saveexec_b32 vcc_lo, s36
	s_delay_alu instid0(SALU_CYCLE_1)
	s_xor_b32 vcc_lo, exec_lo, vcc_lo
	s_cbranch_execz .LBB2_299
; %bb.298:                              ;   in Loop: Header=BB2_229 Depth=2
	ds_store_b32 v0, v129
	s_cbranch_execnz .LBB2_1829
.LBB2_299:                              ;   in Loop: Header=BB2_229 Depth=2
	s_or_b32 exec_lo, exec_lo, s26
	s_mov_b32 s36, s20
	s_mov_b32 s37, s17
	;; [unrolled: 1-line block ×3, first 2 shown]
	;;#ASMSTART
	s_wakeup
	;;#ASMEND
.LBB2_300:                              ;   in Loop: Header=BB2_229 Depth=2
	s_or_b32 exec_lo, exec_lo, s10
.LBB2_301:                              ;   in Loop: Header=BB2_229 Depth=2
	s_and_not1_saveexec_b32 s3, s3
	s_cbranch_execz .LBB2_303
; %bb.302:                              ;   in Loop: Header=BB2_229 Depth=2
	;;#ASMSTART
	s_waitcnt lgkmcnt(0) vmcnt(0)
	;;#ASMEND
	s_waitcnt lgkmcnt(0)
	s_waitcnt_vscnt null, 0x0
	s_barrier
.LBB2_303:                              ;   in Loop: Header=BB2_229 Depth=2
	s_or_b32 exec_lo, exec_lo, s3
	v_and_b32_e32 v2, 16, v30
.LBB2_304:                              ;   in Loop: Header=BB2_229 Depth=2
	s_or_b32 exec_lo, exec_lo, s5
	s_delay_alu instid0(SALU_CYCLE_1) | instskip(NEXT) | instid1(VALU_DEP_1)
	s_mov_b32 s3, exec_lo
	v_cmpx_ne_u32_e32 0, v2
	s_cbranch_execz .LBB2_308
; %bb.305:                              ;   in Loop: Header=BB2_229 Depth=2
	s_and_saveexec_b32 s5, s11
	s_cbranch_execz .LBB2_307
; %bb.306:                              ;   in Loop: Header=BB2_229 Depth=2
	s_waitcnt lgkmcnt(0)
	s_waitcnt_vscnt null, 0x0
	flat_store_b32 v[26:27], v129
.LBB2_307:                              ;   in Loop: Header=BB2_229 Depth=2
	s_or_b32 exec_lo, exec_lo, s5
	v_add_co_u32 v22, vcc_lo, v22, 2
	v_add_co_ci_u32_e32 v23, vcc_lo, 0, v23, vcc_lo
	s_waitcnt lgkmcnt(0)
	s_waitcnt_vscnt null, 0x0
	flat_store_b64 v[20:21], v[22:23]
.LBB2_308:                              ;   in Loop: Header=BB2_229 Depth=2
	s_or_b32 exec_lo, exec_lo, s3
	v_add_nc_u32_e32 v10, v8, v10
	s_mov_b32 s5, 0
	s_and_not1_b32 exec_lo, exec_lo, s15
	s_cbranch_execnz .LBB2_229
; %bb.309:                              ;   in Loop: Header=BB2_55 Depth=1
	s_or_b32 exec_lo, exec_lo, s15
.LBB2_310:                              ;   in Loop: Header=BB2_55 Depth=1
	s_delay_alu instid0(SALU_CYCLE_1) | instskip(NEXT) | instid1(SALU_CYCLE_1)
	s_or_b32 exec_lo, exec_lo, s12
	s_and_not1_b32 vcc_lo, exec_lo, s34
	s_cbranch_vccnz .LBB2_567
; %bb.311:                              ;   in Loop: Header=BB2_55 Depth=1
	s_mov_b32 s17, s21
	s_mov_b32 s15, 2
.LBB2_312:                              ;   Parent Loop BB2_55 Depth=1
                                        ; =>  This Loop Header: Depth=2
                                        ;       Child Loop BB2_314 Depth 3
                                        ;         Child Loop BB2_323 Depth 4
                                        ;         Child Loop BB2_355 Depth 4
                                        ;         Child Loop BB2_378 Depth 4
                                        ;         Child Loop BB2_402 Depth 4
                                        ;         Child Loop BB2_408 Depth 4
                                        ;         Child Loop BB2_418 Depth 4
                                        ;         Child Loop BB2_424 Depth 4
                                        ;         Child Loop BB2_436 Depth 4
                                        ;         Child Loop BB2_462 Depth 4
                                        ;       Child Loop BB2_483 Depth 3
                                        ;         Child Loop BB2_489 Depth 4
                                        ;         Child Loop BB2_519 Depth 4
	;; [unrolled: 1-line block ×3, first 2 shown]
	s_delay_alu instid0(SALU_CYCLE_1) | instskip(SKIP_4) | instid1(SALU_CYCLE_1)
	s_sub_i32 s3, s19, s15
	v_mov_b32_e32 v10, 0
	s_cmp_le_i32 s25, s3
	s_mov_b32 s21, 0
	s_cselect_b32 s5, s25, 0
	s_sub_i32 s3, s3, s5
	s_delay_alu instid0(SALU_CYCLE_1) | instskip(SKIP_3) | instid1(VALU_DEP_1)
	s_ashr_i32 s5, s3, 31
	v_mul_lo_u32 v2, v39, s3
	v_mad_u64_u32 v[52:53], null, v38, s3, 0
	v_mul_lo_u32 v8, v38, s5
	v_add3_u32 v53, v53, v8, v2
	s_delay_alu instid0(VALU_DEP_3) | instskip(NEXT) | instid1(VALU_DEP_2)
	v_sub_co_u32 v8, vcc_lo, v48, v52
	v_sub_co_ci_u32_e32 v9, vcc_lo, v49, v53, vcc_lo
	s_delay_alu instid0(VALU_DEP_1) | instskip(SKIP_1) | instid1(VALU_DEP_1)
	v_cmp_lt_i64_e32 vcc_lo, v[38:39], v[8:9]
	v_cndmask_b32_e32 v8, v8, v38, vcc_lo
	v_max_i32_e32 v68, 0, v8
	v_cmp_lt_i32_e32 vcc_lo, 0, v8
	s_delay_alu instid0(VALU_DEP_2) | instskip(SKIP_1) | instid1(VALU_DEP_1)
	v_add_nc_u32_e32 v2, 31, v68
	s_and_b32 s3, s14, vcc_lo
	v_lshrrev_b32_e32 v2, 1, v2
	s_delay_alu instid0(VALU_DEP_1) | instskip(NEXT) | instid1(VALU_DEP_1)
	v_dual_mov_b32 v2, 0 :: v_dual_and_b32 v9, 0x3ffffff0, v2
	v_max_i32_e32 v8, s16, v9
	s_and_saveexec_b32 s20, s3
	s_cbranch_execz .LBB2_481
; %bb.313:                              ;   in Loop: Header=BB2_312 Depth=2
	v_lshlrev_b64 v[52:53], 3, v[52:53]
	v_mov_b32_e32 v10, 0
	s_mov_b32 s13, 1
	s_mov_b32 s5, -1
.LBB2_314:                              ;   Parent Loop BB2_55 Depth=1
                                        ;     Parent Loop BB2_312 Depth=2
                                        ; =>    This Loop Header: Depth=3
                                        ;         Child Loop BB2_323 Depth 4
                                        ;         Child Loop BB2_355 Depth 4
	;; [unrolled: 1-line block ×9, first 2 shown]
	s_and_saveexec_b32 s3, s0
	s_cbranch_execz .LBB2_317
; %bb.315:                              ;   in Loop: Header=BB2_314 Depth=3
	s_cbranch_execnz .LBB2_1526
; %bb.316:                              ;   in Loop: Header=BB2_314 Depth=3
	ds_load_b64 v[54:55], v0
	v_lshlrev_b64 v[64:65], 3, v[50:51]
	v_ashrrev_i32_e32 v11, 31, v10
	s_waitcnt lgkmcnt(0)
	s_delay_alu instid0(VALU_DEP_2) | instskip(NEXT) | instid1(VALU_DEP_3)
	v_add_co_u32 v2, vcc_lo, v54, v64
	v_add_co_ci_u32_e32 v9, vcc_lo, v55, v65, vcc_lo
	s_delay_alu instid0(VALU_DEP_3) | instskip(NEXT) | instid1(VALU_DEP_3)
	v_lshlrev_b64 v[54:55], 3, v[10:11]
	v_add_co_u32 v2, vcc_lo, v2, v52
	s_delay_alu instid0(VALU_DEP_3) | instskip(NEXT) | instid1(VALU_DEP_2)
	v_add_co_ci_u32_e32 v9, vcc_lo, v9, v53, vcc_lo
	v_add_co_u32 v54, vcc_lo, v2, v54
	s_delay_alu instid0(VALU_DEP_2)
	v_add_co_ci_u32_e32 v55, vcc_lo, v9, v55, vcc_lo
	v_mov_b32_e32 v2, v3
	ds_store_b64 v0, v[54:55]
	ds_store_b64 v0, v[2:3]
.LBB2_317:                              ;   in Loop: Header=BB2_314 Depth=3
	s_or_b32 exec_lo, exec_lo, s3
	v_and_b32_e32 v2, 12, v30
	s_mov_b32 s26, -1
	s_mov_b32 s3, exec_lo
	s_delay_alu instid0(VALU_DEP_1)
	v_cmpx_ne_u32_e32 0, v2
	v_writelane_b32 v42, s5, 22
	v_writelane_b32 v42, s13, 23
	s_cbranch_execz .LBB2_331
; %bb.318:                              ;   in Loop: Header=BB2_314 Depth=3
	v_dual_mov_b32 v9, 1 :: v_dual_and_b32 v2, 8, v30
	s_mov_b32 s5, s38
	s_mov_b32 s10, s37
	;; [unrolled: 1-line block ×3, first 2 shown]
	s_delay_alu instid0(VALU_DEP_1)
	v_add_co_u32 v64, vcc_lo, v28, v2
	v_add_co_ci_u32_e32 v65, vcc_lo, 0, v29, vcc_lo
	v_add_co_u32 v54, vcc_lo, v22, 2
	v_add_co_ci_u32_e32 v55, vcc_lo, 0, v23, vcc_lo
	s_mov_b32 s13, s14
	s_mov_b32 s14, s22
	s_mov_b32 s22, exec_lo
	s_delay_alu instid0(VALU_DEP_1)
	v_cmpx_lt_u64_e64 v[64:65], v[54:55]
	s_cbranch_execz .LBB2_330
; %bb.319:                              ;   in Loop: Header=BB2_314 Depth=3
	v_mov_b32_e32 v9, 0
	s_mov_b32 s26, 0
                                        ; implicit-def: $vcc_hi
	s_branch .LBB2_323
.LBB2_320:                              ;   in Loop: Header=BB2_323 Depth=4
	s_or_b32 exec_lo, exec_lo, s39
	v_mov_b32_e32 v11, 0
	s_or_not1_b32 s38, s38, exec_lo
.LBB2_321:                              ;   in Loop: Header=BB2_323 Depth=4
	s_or_b32 exec_lo, exec_lo, s37
	s_delay_alu instid0(VALU_DEP_1) | instskip(SKIP_2) | instid1(SALU_CYCLE_1)
	v_mov_b32_e32 v9, v11
	s_and_not1_b32 vcc_lo, vcc_hi, exec_lo
	s_and_b32 vcc_hi, s38, exec_lo
	s_or_b32 vcc_hi, vcc_lo, vcc_hi
.LBB2_322:                              ;   in Loop: Header=BB2_323 Depth=4
	s_or_b32 exec_lo, exec_lo, s36
	s_waitcnt vmcnt(0) lgkmcnt(0)
	v_add_co_u32 v64, vcc_lo, v28, v2
	v_add_co_ci_u32_e32 v65, vcc_lo, 0, v29, vcc_lo
	s_delay_alu instid0(VALU_DEP_1) | instskip(SKIP_1) | instid1(SALU_CYCLE_1)
	v_cmp_ge_u64_e32 vcc_lo, v[64:65], v[54:55]
	s_xor_b32 s36, vcc_hi, -1
	s_or_b32 vcc_lo, s36, vcc_lo
	s_delay_alu instid0(SALU_CYCLE_1) | instskip(NEXT) | instid1(SALU_CYCLE_1)
	s_and_b32 vcc_lo, exec_lo, vcc_lo
	s_or_b32 s26, vcc_lo, s26
	s_delay_alu instid0(SALU_CYCLE_1)
	s_and_not1_b32 exec_lo, exec_lo, s26
	s_cbranch_execz .LBB2_329
.LBB2_323:                              ;   Parent Loop BB2_55 Depth=1
                                        ;     Parent Loop BB2_312 Depth=2
                                        ;       Parent Loop BB2_314 Depth=3
                                        ; =>      This Inner Loop Header: Depth=4
	s_sleep 1
	flat_load_b64 v[28:29], v[20:21] glc
	v_and_b32_e32 v11, 64, v30
	s_and_not1_b32 vcc_hi, vcc_hi, exec_lo
	s_mov_b32 s36, exec_lo
	s_delay_alu instid0(VALU_DEP_1)
	v_cmpx_eq_u32_e32 0, v11
	s_cbranch_execz .LBB2_322
; %bb.324:                              ;   in Loop: Header=BB2_323 Depth=4
	v_add_nc_u32_e32 v11, 1, v9
	s_mov_b32 s38, -1
	s_mov_b32 s37, exec_lo
	v_cmpx_lt_i32_e32 0x270e, v9
	s_cbranch_execz .LBB2_321
; %bb.325:                              ;   in Loop: Header=BB2_323 Depth=4
	s_cbranch_execnz .LBB2_1557
; %bb.326:                              ;   in Loop: Header=BB2_323 Depth=4
	ds_load_b64 v[64:65], v0
	s_mov_b32 s39, exec_lo
	s_waitcnt vmcnt(0) lgkmcnt(0)
	s_waitcnt_vscnt null, 0x0
	flat_load_b32 v9, v[64:65] glc
	s_waitcnt vmcnt(0) lgkmcnt(0)
	buffer_gl1_inv
	buffer_gl0_inv
	v_cmpx_ne_u32_e32 0, v9
	s_cbranch_execz .LBB2_320
; %bb.327:                              ;   in Loop: Header=BB2_323 Depth=4
	ds_store_b32 v0, v9
	s_cbranch_execnz .LBB2_1607
; %bb.328:                              ;   in Loop: Header=BB2_323 Depth=4
	v_or_b32_e32 v30, 64, v30
	s_xor_b32 s38, exec_lo, -1
	s_branch .LBB2_320
.LBB2_329:                              ;   in Loop: Header=BB2_314 Depth=3
	s_or_b32 exec_lo, exec_lo, s26
	v_and_b32_e32 v9, 12, v30
.LBB2_330:                              ;   in Loop: Header=BB2_314 Depth=3
	s_or_b32 exec_lo, exec_lo, s22
	s_delay_alu instid0(VALU_DEP_1)
	v_cmp_eq_u32_e32 vcc_lo, 0, v9
	s_mov_b32 s22, s14
	s_mov_b32 s14, s13
	;; [unrolled: 1-line block ×4, first 2 shown]
	s_or_not1_b32 s26, vcc_lo, exec_lo
	s_mov_b32 s38, s5
	;;#ASMSTART
	s_wakeup
	;;#ASMEND
.LBB2_331:                              ;   in Loop: Header=BB2_314 Depth=3
	s_or_b32 exec_lo, exec_lo, s3
	v_sub_nc_u32_e32 v2, v68, v10
	s_xor_b32 s5, s26, -1
	s_delay_alu instid0(VALU_DEP_1)
	v_min_i32_e32 v8, v8, v2
	s_and_saveexec_b32 s3, s5
	s_cbranch_execz .LBB2_346
; %bb.332:                              ;   in Loop: Header=BB2_314 Depth=3
	v_and_b32_e32 v2, 0x108, v30
	s_mov_b32 s5, s38
	s_mov_b32 s10, s37
	;; [unrolled: 1-line block ×3, first 2 shown]
	s_mov_b32 s13, exec_lo
	v_cmpx_ne_u32_e32 0x108, v2
	s_xor_b32 s13, exec_lo, s13
                                        ; implicit-def: $vgpr54_vgpr55
; %bb.333:                              ;   in Loop: Header=BB2_314 Depth=3
	v_and_b32_e32 v54, 7, v22
; %bb.334:                              ;   in Loop: Header=BB2_314 Depth=3
	s_and_not1_saveexec_b32 s13, s13
	s_cbranch_execz .LBB2_336
; %bb.335:                              ;   in Loop: Header=BB2_314 Depth=3
	v_and_b32_e32 v54, 7, v22
	v_ashrrev_i32_e32 v9, 31, v8
	s_delay_alu instid0(VALU_DEP_2) | instskip(NEXT) | instid1(VALU_DEP_2)
	v_mad_u64_u32 v[64:65], null, v54, 24, v[6:7]
	v_lshlrev_b64 v[66:67], 3, v[8:9]
	flat_store_b64 v[64:65], v[66:67] offset:8
.LBB2_336:                              ;   in Loop: Header=BB2_314 Depth=3
	s_or_b32 exec_lo, exec_lo, s13
	v_and_b32_e32 v2, 0x100, v30
	s_mov_b32 s13, -1
	s_mov_b32 s26, exec_lo
                                        ; implicit-def: $vgpr64_vgpr65
	s_delay_alu instid0(VALU_DEP_1)
	v_cmpx_ne_u32_e32 0, v2
	s_cbranch_execz .LBB2_341
; %bb.337:                              ;   in Loop: Header=BB2_314 Depth=3
	v_mad_u64_u32 v[66:67], null, v54, 24, v[6:7]
	s_delay_alu instid0(VALU_DEP_1) | instskip(NEXT) | instid1(VALU_DEP_1)
	v_mov_b32_e32 v2, v67
	v_mad_u64_u32 v[64:65], null, v3, 24, v[2:3]
	s_delay_alu instid0(VALU_DEP_1)
	v_mov_b32_e32 v67, v64
                                        ; implicit-def: $vgpr64_vgpr65
	flat_load_b32 v2, v[66:67]
	s_waitcnt vmcnt(0) lgkmcnt(0)
	v_cmp_ne_u32_e32 vcc_lo, 1, v2
	s_mov_b32 vcc_hi, exec_lo
	v_cmpx_eq_u32_e32 1, v2
	s_cbranch_execz .LBB2_339
; %bb.338:                              ;   in Loop: Header=BB2_314 Depth=3
	flat_load_b32 v64, v[66:67] offset:4 glc
	s_waitcnt vmcnt(0) lgkmcnt(0)
	v_ashrrev_i32_e32 v65, 31, v64
	s_delay_alu instid0(VALU_DEP_1)
	v_lshrrev_b64 v[64:65], 3, v[64:65]
.LBB2_339:                              ;   in Loop: Header=BB2_314 Depth=3
	s_or_b32 exec_lo, exec_lo, vcc_hi
	s_delay_alu instid0(SALU_CYCLE_1)
	s_or_not1_b32 s13, vcc_lo, exec_lo
	s_or_b32 exec_lo, exec_lo, s26
	s_and_saveexec_b32 s26, s13
	s_cbranch_execnz .LBB2_342
.LBB2_340:                              ;   in Loop: Header=BB2_314 Depth=3
	s_or_b32 exec_lo, exec_lo, s26
	s_cbranch_execz .LBB2_343
	s_branch .LBB2_1553
.LBB2_341:                              ;   in Loop: Header=BB2_314 Depth=3
	s_or_b32 exec_lo, exec_lo, s26
	s_and_saveexec_b32 s26, s13
	s_cbranch_execz .LBB2_340
.LBB2_342:                              ;   in Loop: Header=BB2_314 Depth=3
	v_mul_lo_u32 v2, v3, v86
	v_mul_lo_u32 v9, v54, v87
	v_mad_u64_u32 v[64:65], null, v54, v86, 0
	s_delay_alu instid0(VALU_DEP_1)
	v_add3_u32 v65, v65, v9, v2
	s_or_b32 exec_lo, exec_lo, s26
	s_cbranch_execnz .LBB2_1553
.LBB2_343:                              ;   in Loop: Header=BB2_314 Depth=3
	s_delay_alu instid0(VALU_DEP_1) | instskip(SKIP_2) | instid1(VALU_DEP_2)
	v_lshlrev_b64 v[54:55], 3, v[64:65]
	v_and_b32_e32 v2, 0x2000, v30
	s_mov_b32 s13, exec_lo
	v_add_co_u32 v54, vcc_lo, v24, v54
	s_delay_alu instid0(VALU_DEP_3)
	v_add_co_ci_u32_e32 v55, vcc_lo, v25, v55, vcc_lo
	ds_store_b64 v0, v[54:55]
	v_cmpx_ne_u32_e32 0, v2
	s_cbranch_execz .LBB2_345
; %bb.344:                              ;   in Loop: Header=BB2_314 Depth=3
	ds_load_b64 v[54:55], v0 offset:584
	s_waitcnt lgkmcnt(0)
	v_add_co_u32 v54, vcc_lo, v54, 1
	v_add_co_ci_u32_e32 v55, vcc_lo, 0, v55, vcc_lo
	ds_store_b64 v0, v[54:55] offset:584
.LBB2_345:                              ;   in Loop: Header=BB2_314 Depth=3
	s_or_b32 exec_lo, exec_lo, s13
	v_add_co_u32 v22, vcc_lo, v22, 2
	v_add_co_ci_u32_e32 v23, vcc_lo, 0, v23, vcc_lo
	s_mov_b32 s36, s12
	s_mov_b32 s37, s10
	;; [unrolled: 1-line block ×3, first 2 shown]
.LBB2_346:                              ;   in Loop: Header=BB2_314 Depth=3
	s_or_b32 exec_lo, exec_lo, s3
	s_and_saveexec_b32 s5, s38
	s_cbranch_execz .LBB2_368
; %bb.347:                              ;   in Loop: Header=BB2_314 Depth=3
	s_mov_b32 s10, s37
	s_mov_b32 s12, s36
	;; [unrolled: 1-line block ×5, first 2 shown]
	s_and_saveexec_b32 s22, s4
	s_delay_alu instid0(SALU_CYCLE_1)
	s_xor_b32 s4, exec_lo, s22
	s_cbranch_execz .LBB2_365
; %bb.348:                              ;   in Loop: Header=BB2_314 Depth=3
	s_and_saveexec_b32 s22, s1
	s_cbranch_execz .LBB2_364
; %bb.349:                              ;   in Loop: Header=BB2_314 Depth=3
	s_mov_b32 vcc_hi, exec_lo
	s_mov_b32 s26, exec_lo
	v_mbcnt_lo_u32_b32 v2, vcc_hi, 0
	s_waitcnt lgkmcnt(0)
	s_waitcnt_vscnt null, 0x0
	buffer_gl1_inv
	buffer_gl0_inv
	v_cmpx_eq_u32_e32 0, v2
	s_cbranch_execz .LBB2_351
; %bb.350:                              ;   in Loop: Header=BB2_314 Depth=3
	s_bcnt1_i32_b32 vcc_lo, vcc_hi
	s_delay_alu instid0(SALU_CYCLE_1)
	v_mov_b32_e32 v2, vcc_lo
	ds_add_u64 v0, v[2:3]
	s_cbranch_execnz .LBB2_1663
.LBB2_351:                              ;   in Loop: Header=BB2_314 Depth=3
	s_or_b32 exec_lo, exec_lo, s26
	s_cbranch_execnz .LBB2_1629
; %bb.352:                              ;   in Loop: Header=BB2_314 Depth=3
	ds_load_b64 v[54:55], v0
	v_add_co_u32 v12, vcc_lo, v12, v96
	v_add_co_ci_u32_e32 v13, vcc_lo, 0, v13, vcc_lo
	s_mov_b32 s26, exec_lo
	s_waitcnt lgkmcnt(0)
	s_delay_alu instid0(VALU_DEP_1)
	v_cmpx_lt_u64_e64 v[54:55], v[12:13]
	s_cbranch_execz .LBB2_363
; %bb.353:                              ;   in Loop: Header=BB2_314 Depth=3
	s_mov_b32 vcc_hi, 0
	s_mov_b32 s39, 0
                                        ; implicit-def: $sgpr36
                                        ; implicit-def: $sgpr37
	s_branch .LBB2_355
.LBB2_354:                              ;   in Loop: Header=BB2_355 Depth=4
	s_or_b32 exec_lo, exec_lo, s41
	s_delay_alu instid0(SALU_CYCLE_1) | instskip(NEXT) | instid1(SALU_CYCLE_1)
	s_and_b32 vcc_lo, exec_lo, vcc_lo
	s_or_b32 vcc_hi, vcc_lo, vcc_hi
	s_and_not1_b32 vcc_lo, s36, exec_lo
	s_and_b32 s36, s37, exec_lo
	s_delay_alu instid0(SALU_CYCLE_1)
	s_or_b32 s36, vcc_lo, s36
	s_and_not1_b32 exec_lo, exec_lo, vcc_hi
	s_cbranch_execz .LBB2_361
.LBB2_355:                              ;   Parent Loop BB2_55 Depth=1
                                        ;     Parent Loop BB2_312 Depth=2
                                        ;       Parent Loop BB2_314 Depth=3
                                        ; =>      This Inner Loop Header: Depth=4
	s_add_i32 s39, s39, 1
                                        ; implicit-def: $sgpr41
	s_delay_alu instid0(SALU_CYCLE_1) | instskip(SKIP_1) | instid1(SALU_CYCLE_1)
	s_cmpk_lg_i32 s39, 0x2710
	s_cselect_b32 s40, -1, 0
	s_and_b32 vcc_lo, exec_lo, s40
	s_cbranch_vccz .LBB2_359
.LBB2_356:                              ;   in Loop: Header=BB2_355 Depth=4
	s_and_not1_b32 s37, s37, exec_lo
	s_and_b32 s41, s41, exec_lo
	s_mov_b32 vcc_lo, -1
	s_or_b32 s37, s37, s41
	s_and_saveexec_b32 s41, s40
	s_cbranch_execz .LBB2_354
; %bb.357:                              ;   in Loop: Header=BB2_355 Depth=4
	s_sleep 1
	s_cbranch_execnz .LBB2_1709
; %bb.358:                              ;   in Loop: Header=BB2_355 Depth=4
	ds_load_b64 v[54:55], v0
	s_and_not1_b32 s37, s37, exec_lo
	s_waitcnt lgkmcnt(0)
	v_cmp_ge_u64_e32 vcc_lo, v[54:55], v[12:13]
	s_or_not1_b32 vcc_lo, vcc_lo, exec_lo
	s_branch .LBB2_354
.LBB2_359:                              ;   in Loop: Header=BB2_355 Depth=4
	s_cbranch_execnz .LBB2_1721
; %bb.360:                              ;   in Loop: Header=BB2_355 Depth=4
	ds_load_b64 v[54:55], v0
	s_and_not1_b32 s40, s40, exec_lo
	s_mov_b32 s39, 0
	s_mov_b32 s41, -1
	s_waitcnt lgkmcnt(0)
	flat_load_b32 v2, v[54:55] glc
	s_waitcnt vmcnt(0) lgkmcnt(0)
	buffer_gl1_inv
	buffer_gl0_inv
	v_cmp_eq_u32_e32 vcc_lo, 0, v2
	s_and_b32 vcc_lo, vcc_lo, exec_lo
	s_delay_alu instid0(SALU_CYCLE_1)
	s_or_b32 s40, s40, vcc_lo
	s_branch .LBB2_356
.LBB2_361:                              ;   in Loop: Header=BB2_314 Depth=3
	s_or_b32 exec_lo, exec_lo, vcc_hi
	s_and_saveexec_b32 vcc_lo, s36
	s_delay_alu instid0(SALU_CYCLE_1)
	s_xor_b32 vcc_lo, exec_lo, vcc_lo
	s_cbranch_execz .LBB2_363
; %bb.362:                              ;   in Loop: Header=BB2_314 Depth=3
	ds_store_b32 v0, v129
	s_cbranch_execnz .LBB2_1917
.LBB2_363:                              ;   in Loop: Header=BB2_314 Depth=3
	s_or_b32 exec_lo, exec_lo, s26
	;;#ASMSTART
	s_wakeup
	;;#ASMEND
.LBB2_364:                              ;   in Loop: Header=BB2_314 Depth=3
	s_or_b32 exec_lo, exec_lo, s22
.LBB2_365:                              ;   in Loop: Header=BB2_314 Depth=3
	s_and_not1_saveexec_b32 s4, s4
	s_cbranch_execz .LBB2_367
; %bb.366:                              ;   in Loop: Header=BB2_314 Depth=3
	s_waitcnt lgkmcnt(0)
	s_waitcnt_vscnt null, 0x0
	buffer_gl1_inv
	buffer_gl0_inv
	s_barrier
.LBB2_367:                              ;   in Loop: Header=BB2_314 Depth=3
	s_or_b32 exec_lo, exec_lo, s4
	s_mov_b32 s22, s14
	s_mov_b32 s14, s13
	;; [unrolled: 1-line block ×5, first 2 shown]
.LBB2_368:                              ;   in Loop: Header=BB2_314 Depth=3
	s_mov_b32 s12, s37
	s_mov_b32 s37, s36
	;; [unrolled: 1-line block ×3, first 2 shown]
	s_or_b32 exec_lo, exec_lo, s5
	s_cbranch_execnz .LBB2_1532
; %bb.369:                              ;   in Loop: Header=BB2_314 Depth=3
	ds_load_b32 v11, v0
	v_and_b32_e32 v2, 0x4000, v30
	s_mov_b32 s10, s2
	s_xor_b32 s2, s2, -1
	s_mov_b32 s3, s38
	s_delay_alu instid0(VALU_DEP_1) | instskip(SKIP_1) | instid1(SALU_CYCLE_1)
	v_cmp_ne_u32_e32 vcc_lo, 0, v2
	s_and_b32 s2, s2, vcc_lo
	s_and_saveexec_b32 s5, s2
	s_cbranch_execz .LBB2_391
; %bb.370:                              ;   in Loop: Header=BB2_314 Depth=3
	s_and_saveexec_b32 s2, s4
	s_delay_alu instid0(SALU_CYCLE_1)
	s_xor_b32 s2, exec_lo, s2
	s_cbranch_execz .LBB2_388
; %bb.371:                              ;   in Loop: Header=BB2_314 Depth=3
	s_and_saveexec_b32 s13, s1
	s_cbranch_execz .LBB2_387
; %bb.372:                              ;   in Loop: Header=BB2_314 Depth=3
	s_mov_b32 s26, exec_lo
	s_mov_b32 s14, exec_lo
	v_mbcnt_lo_u32_b32 v2, s26, 0
	s_waitcnt lgkmcnt(0)
	s_waitcnt_vscnt null, 0x0
	buffer_gl1_inv
	buffer_gl0_inv
	v_cmpx_eq_u32_e32 0, v2
	s_cbranch_execz .LBB2_374
; %bb.373:                              ;   in Loop: Header=BB2_314 Depth=3
	s_bcnt1_i32_b32 s26, s26
	s_delay_alu instid0(SALU_CYCLE_1)
	v_mov_b32_e32 v2, s26
	ds_add_u64 v0, v[2:3]
	s_cbranch_execnz .LBB2_1695
.LBB2_374:                              ;   in Loop: Header=BB2_314 Depth=3
	s_or_b32 exec_lo, exec_lo, s14
	s_cbranch_execnz .LBB2_1685
; %bb.375:                              ;   in Loop: Header=BB2_314 Depth=3
	ds_load_b64 v[54:55], v0
	v_add_co_u32 v12, vcc_lo, v12, v96
	v_add_co_ci_u32_e32 v13, vcc_lo, 0, v13, vcc_lo
	s_mov_b32 s14, exec_lo
	s_waitcnt lgkmcnt(0)
	s_delay_alu instid0(VALU_DEP_1)
	v_cmpx_lt_u64_e64 v[54:55], v[12:13]
	s_cbranch_execz .LBB2_386
; %bb.376:                              ;   in Loop: Header=BB2_314 Depth=3
	s_mov_b32 s26, 0
	s_mov_b32 s39, 0
                                        ; implicit-def: $vcc_hi
                                        ; implicit-def: $sgpr38
	s_branch .LBB2_378
.LBB2_377:                              ;   in Loop: Header=BB2_378 Depth=4
	s_or_b32 exec_lo, exec_lo, s41
	s_delay_alu instid0(SALU_CYCLE_1) | instskip(NEXT) | instid1(SALU_CYCLE_1)
	s_and_b32 vcc_lo, exec_lo, vcc_lo
	s_or_b32 s26, vcc_lo, s26
	s_and_not1_b32 vcc_lo, vcc_hi, exec_lo
	s_and_b32 vcc_hi, s38, exec_lo
	s_delay_alu instid0(SALU_CYCLE_1)
	s_or_b32 vcc_hi, vcc_lo, vcc_hi
	s_and_not1_b32 exec_lo, exec_lo, s26
	s_cbranch_execz .LBB2_384
.LBB2_378:                              ;   Parent Loop BB2_55 Depth=1
                                        ;     Parent Loop BB2_312 Depth=2
                                        ;       Parent Loop BB2_314 Depth=3
                                        ; =>      This Inner Loop Header: Depth=4
	s_add_i32 s39, s39, 1
                                        ; implicit-def: $sgpr41
	s_delay_alu instid0(SALU_CYCLE_1) | instskip(SKIP_1) | instid1(SALU_CYCLE_1)
	s_cmpk_lg_i32 s39, 0x2710
	s_cselect_b32 s40, -1, 0
	s_and_b32 vcc_lo, exec_lo, s40
	s_cbranch_vccz .LBB2_382
.LBB2_379:                              ;   in Loop: Header=BB2_378 Depth=4
	s_and_not1_b32 s38, s38, exec_lo
	s_and_b32 s41, s41, exec_lo
	s_mov_b32 vcc_lo, -1
	s_or_b32 s38, s38, s41
	s_and_saveexec_b32 s41, s40
	s_cbranch_execz .LBB2_377
; %bb.380:                              ;   in Loop: Header=BB2_378 Depth=4
	s_sleep 1
	s_cbranch_execnz .LBB2_1761
; %bb.381:                              ;   in Loop: Header=BB2_378 Depth=4
	ds_load_b64 v[54:55], v0
	s_and_not1_b32 s38, s38, exec_lo
	s_waitcnt lgkmcnt(0)
	v_cmp_ge_u64_e32 vcc_lo, v[54:55], v[12:13]
	s_or_not1_b32 vcc_lo, vcc_lo, exec_lo
	s_branch .LBB2_377
.LBB2_382:                              ;   in Loop: Header=BB2_378 Depth=4
	s_cbranch_execnz .LBB2_1775
; %bb.383:                              ;   in Loop: Header=BB2_378 Depth=4
	ds_load_b64 v[54:55], v0
	s_and_not1_b32 s40, s40, exec_lo
	s_mov_b32 s39, 0
	s_mov_b32 s41, -1
	s_waitcnt lgkmcnt(0)
	flat_load_b32 v2, v[54:55] glc
	s_waitcnt vmcnt(0) lgkmcnt(0)
	buffer_gl1_inv
	buffer_gl0_inv
	v_cmp_eq_u32_e32 vcc_lo, 0, v2
	s_and_b32 vcc_lo, vcc_lo, exec_lo
	s_delay_alu instid0(SALU_CYCLE_1)
	s_or_b32 s40, s40, vcc_lo
	s_branch .LBB2_379
.LBB2_384:                              ;   in Loop: Header=BB2_314 Depth=3
	s_or_b32 exec_lo, exec_lo, s26
	s_and_saveexec_b32 s26, vcc_hi
	s_delay_alu instid0(SALU_CYCLE_1)
	s_xor_b32 s26, exec_lo, s26
	s_cbranch_execz .LBB2_386
; %bb.385:                              ;   in Loop: Header=BB2_314 Depth=3
	ds_store_b32 v0, v129
	s_cbranch_execnz .LBB2_1953
.LBB2_386:                              ;   in Loop: Header=BB2_314 Depth=3
	s_or_b32 exec_lo, exec_lo, s14
	;;#ASMSTART
	s_wakeup
	;;#ASMEND
.LBB2_387:                              ;   in Loop: Header=BB2_314 Depth=3
	s_or_b32 exec_lo, exec_lo, s13
.LBB2_388:                              ;   in Loop: Header=BB2_314 Depth=3
	s_and_not1_saveexec_b32 s2, s2
	s_cbranch_execz .LBB2_390
; %bb.389:                              ;   in Loop: Header=BB2_314 Depth=3
	s_waitcnt lgkmcnt(0)
	s_waitcnt_vscnt null, 0x0
	buffer_gl1_inv
	buffer_gl0_inv
	s_barrier
.LBB2_390:                              ;   in Loop: Header=BB2_314 Depth=3
	s_or_b32 exec_lo, exec_lo, s2
.LBB2_391:                              ;   in Loop: Header=BB2_314 Depth=3
	s_delay_alu instid0(SALU_CYCLE_1)
	s_or_b32 exec_lo, exec_lo, s5
	s_cbranch_execnz .LBB2_1575
; %bb.392:                              ;   in Loop: Header=BB2_314 Depth=3
	ds_load_b64 v[54:55], v0
	v_mov_b32_e32 v9, 0
	s_waitcnt lgkmcnt(0)
	v_cmp_eq_u64_e32 vcc_lo, 0, v[54:55]
	s_or_b32 s2, vcc_lo, vcc_lo
	s_delay_alu instid0(SALU_CYCLE_1)
	s_and_b32 vcc_lo, exec_lo, s2
	s_cbranch_vccnz .LBB2_427
; %bb.393:                              ;   in Loop: Header=BB2_314 Depth=3
	s_mov_b32 s2, -1
	s_and_saveexec_b32 s5, s17
	s_cbranch_execz .LBB2_395
; %bb.394:                              ;   in Loop: Header=BB2_314 Depth=3
	ds_load_b32 v2, v0 offset:720
	s_waitcnt lgkmcnt(0)
	v_and_b32_e32 v2, 15, v2
	s_delay_alu instid0(VALU_DEP_1)
	v_cmp_eq_u32_e32 vcc_lo, 0, v2
	s_or_not1_b32 s2, vcc_lo, exec_lo
.LBB2_395:                              ;   in Loop: Header=BB2_314 Depth=3
	s_or_b32 exec_lo, exec_lo, s5
	s_delay_alu instid0(SALU_CYCLE_1) | instskip(SKIP_1) | instid1(VALU_DEP_1)
	s_mov_b32 s5, exec_lo
	v_readlane_b32 s13, v42, 4
	s_and_b32 s13, s5, s13
	s_delay_alu instid0(SALU_CYCLE_1)
	s_mov_b32 exec_lo, s13
	s_cbranch_execz .LBB2_397
; %bb.396:                              ;   in Loop: Header=BB2_314 Depth=3
	ds_load_b32 v2, v0 offset:784
	s_waitcnt lgkmcnt(0)
	v_and_b32_e32 v2, 15, v2
	s_delay_alu instid0(VALU_DEP_1) | instskip(SKIP_3) | instid1(SALU_CYCLE_1)
	v_cmp_eq_u32_e32 vcc_lo, 0, v2
	s_and_b32 s13, s2, vcc_lo
	s_and_not1_b32 s2, s2, exec_lo
	s_and_b32 s13, s13, exec_lo
	s_or_b32 s2, s2, s13
.LBB2_397:                              ;   in Loop: Header=BB2_314 Depth=3
	s_or_b32 exec_lo, exec_lo, s5
	v_cmp_eq_u32_e32 vcc_lo, 0, v11
	s_xor_b32 s2, s2, -1
	v_mov_b32_e32 v11, 0
	v_cndmask_b32_e64 v2, 0, 1, s2
	;;#ASMSTART
	;;#ASMEND
	v_cndmask_b32_e32 v9, 0, v8, vcc_lo
	s_delay_alu instid0(VALU_DEP_2) | instskip(SKIP_1) | instid1(VALU_DEP_2)
	v_cmp_ne_u32_e32 vcc_lo, 0, v2
	s_mov_b32 s2, -1
	v_lshlrev_b32_e32 v2, 3, v9
	s_cbranch_vccz .LBB2_399
; %bb.398:                              ;   in Loop: Header=BB2_314 Depth=3
	v_dual_mov_b32 v69, v98 :: v_dual_mov_b32 v54, v97
	s_branch .LBB2_414
.LBB2_399:                              ;   in Loop: Header=BB2_314 Depth=3
	s_delay_alu instid0(VALU_DEP_1) | instskip(SKIP_1) | instid1(VALU_DEP_1)
	v_ashrrev_i32_e32 v11, 31, v2
	s_mov_b32 s2, exec_lo
	v_lshrrev_b32_e32 v11, 23, v11
	s_delay_alu instid0(VALU_DEP_1) | instskip(NEXT) | instid1(VALU_DEP_1)
	v_add_nc_u32_e32 v11, v2, v11
	v_and_b32_e32 v70, 0xfffffe00, v11
	v_ashrrev_i32_e32 v54, 9, v11
	v_sub_nc_u32_e32 v11, v2, v0
	s_delay_alu instid0(VALU_DEP_3) | instskip(NEXT) | instid1(VALU_DEP_1)
	v_sub_nc_u32_e32 v82, v2, v70
	v_cmp_lt_i32_e32 vcc_lo, 15, v82
	s_delay_alu instid0(VALU_DEP_4) | instskip(NEXT) | instid1(VALU_DEP_4)
	v_add_co_ci_u32_e64 v81, s13, v54, v119, vcc_lo
	v_cmpx_lt_i32_e32 15, v11
	s_cbranch_execz .LBB2_404
; %bb.400:                              ;   in Loop: Header=BB2_314 Depth=3
	s_cbranch_execnz .LBB2_1725
; %bb.401:                              ;   in Loop: Header=BB2_314 Depth=3
	ds_load_b128 v[64:67], v0
	ds_load_b64 v[83:84], v0
	s_mov_b32 s5, 0
	s_waitcnt lgkmcnt(1)
	v_add_co_u32 v54, s13, v64, v0
	s_delay_alu instid0(VALU_DEP_1) | instskip(SKIP_1) | instid1(VALU_DEP_1)
	v_add_co_ci_u32_e64 v55, s13, v65, v128, s13
	v_add_co_u32 v64, s13, v66, v0
	v_add_co_ci_u32_e64 v65, s13, v67, v128, s13
	s_waitcnt lgkmcnt(0)
	v_add_co_u32 v66, s13, v83, v0
	s_delay_alu instid0(VALU_DEP_1)
	v_add_co_ci_u32_e64 v67, s13, v84, v128, s13
	s_set_inst_prefetch_distance 0x1
.LBB2_402:                              ;   Parent Loop BB2_55 Depth=1
                                        ;     Parent Loop BB2_312 Depth=2
                                        ;       Parent Loop BB2_314 Depth=3
                                        ; =>      This Inner Loop Header: Depth=4
	global_load_b128 v[130:133], v[54:55], off slc dlc
	global_load_b128 v[144:147], v[64:65], off slc dlc
	v_add_co_u32 v54, s13, v54, v114
	v_sub_nc_u32_e32 v11, v11, v99
	v_add_co_ci_u32_e64 v55, s13, v55, v115, s13
	v_add_co_u32 v64, s13, v64, v114
	s_delay_alu instid0(VALU_DEP_1) | instskip(NEXT) | instid1(VALU_DEP_4)
	v_add_co_ci_u32_e64 v65, s13, v65, v115, s13
	v_cmp_gt_i32_e64 s13, 16, v11
	v_sub_nc_u32_e32 v81, v81, v96
	s_delay_alu instid0(VALU_DEP_2) | instskip(SKIP_2) | instid1(VALU_DEP_1)
	s_or_b32 s5, s13, s5
	s_waitcnt vmcnt(0)
	v_add_co_u32 v130, s14, v144, v130
	v_add_co_ci_u32_e64 v131, s14, v145, v131, s14
	v_add_co_u32 v132, s14, v146, v132
	s_delay_alu instid0(VALU_DEP_1) | instskip(SKIP_2) | instid1(VALU_DEP_1)
	v_add_co_ci_u32_e64 v133, s14, v147, v133, s14
	global_store_b128 v[66:67], v[130:133], off glc slc dlc
	v_add_co_u32 v66, s14, v66, v114
	v_add_co_ci_u32_e64 v67, s14, v67, v115, s14
	s_and_not1_b32 exec_lo, exec_lo, s5
	s_cbranch_execnz .LBB2_402
; %bb.403:                              ;   in Loop: Header=BB2_314 Depth=3
	s_set_inst_prefetch_distance 0x2
	s_or_b32 exec_lo, exec_lo, s5
.LBB2_404:                              ;   in Loop: Header=BB2_314 Depth=3
	s_delay_alu instid0(SALU_CYCLE_1) | instskip(SKIP_3) | instid1(VALU_DEP_1)
	s_or_b32 exec_lo, exec_lo, s2
	v_and_b32_e32 v55, 8, v2
	s_mov_b32 s2, 0
	s_mov_b32 s5, exec_lo
                                        ; implicit-def: $vgpr2
                                        ; implicit-def: $vgpr69
                                        ; implicit-def: $vgpr54
	v_dual_mov_b32 v11, 0 :: v_dual_cndmask_b32 v80, v82, v55
	s_delay_alu instid0(VALU_DEP_1)
	v_cmpx_ne_u32_e32 0, v80
	s_cbranch_execz .LBB2_413
; %bb.405:                              ;   in Loop: Header=BB2_314 Depth=3
	v_cmp_lt_i32_e64 s13, 0, v81
	v_ashrrev_i32_e32 v54, 31, v80
	v_sub_nc_u32_e32 v55, v82, v55
	s_mov_b32 s2, exec_lo
	s_delay_alu instid0(VALU_DEP_3) | instskip(NEXT) | instid1(VALU_DEP_3)
	v_cndmask_b32_e64 v2, 0, v96, s13
	v_lshrrev_b32_e32 v54, 23, v54
	s_delay_alu instid0(VALU_DEP_3) | instskip(NEXT) | instid1(VALU_DEP_3)
	v_cndmask_b32_e32 v55, 0, v55, vcc_lo
	v_sub_nc_u32_e32 v2, v2, v81
	s_delay_alu instid0(VALU_DEP_3) | instskip(NEXT) | instid1(VALU_DEP_3)
	v_add_nc_u32_e32 v54, v80, v54
	v_add_nc_u32_e32 v70, v55, v70
	s_delay_alu instid0(VALU_DEP_3) | instskip(NEXT) | instid1(VALU_DEP_3)
	v_lshl_add_u32 v2, v2, 5, v98
	v_and_b32_e32 v81, 0xfffffe00, v54
	v_ashrrev_i32_e32 v54, 9, v54
	s_delay_alu instid0(VALU_DEP_3) | instskip(NEXT) | instid1(VALU_DEP_3)
	v_ashrrev_i32_e32 v11, 31, v2
	v_sub_nc_u32_e32 v82, v80, v81
	s_delay_alu instid0(VALU_DEP_2) | instskip(NEXT) | instid1(VALU_DEP_2)
	v_lshrrev_b32_e32 v11, 27, v11
	v_cmp_lt_i32_e32 vcc_lo, 15, v82
	s_delay_alu instid0(VALU_DEP_2) | instskip(SKIP_1) | instid1(VALU_DEP_2)
	v_add_nc_u32_e32 v11, v2, v11
	v_add_co_ci_u32_e64 v54, s13, 0, v54, vcc_lo
	v_and_b32_e32 v64, 0xffffffe0, v11
	s_delay_alu instid0(VALU_DEP_1) | instskip(SKIP_1) | instid1(VALU_DEP_2)
	v_sub_nc_u32_e32 v83, v2, v64
	v_ashrrev_i32_e32 v64, 5, v11
	v_lshlrev_b32_e32 v2, 4, v83
	s_delay_alu instid0(VALU_DEP_2) | instskip(NEXT) | instid1(VALU_DEP_2)
	v_sub_nc_u32_e32 v84, v54, v64
	v_lshl_add_u32 v11, v64, 9, v2
	s_delay_alu instid0(VALU_DEP_1) | instskip(NEXT) | instid1(VALU_DEP_1)
	v_sub_nc_u32_e32 v2, v80, v11
	v_cmpx_lt_i32_e32 15, v2
	s_cbranch_execz .LBB2_410
; %bb.406:                              ;   in Loop: Header=BB2_314 Depth=3
	s_cbranch_execnz .LBB2_1791
; %bb.407:                              ;   in Loop: Header=BB2_314 Depth=3
	ds_load_b128 v[64:67], v0
	ds_load_b64 v[130:131], v0
	v_add_nc_u32_e32 v11, v11, v70
	s_mov_b32 s26, 0
	s_delay_alu instid0(VALU_DEP_1) | instskip(SKIP_2) | instid1(VALU_DEP_1)
	v_ashrrev_i32_e32 v69, 31, v11
	s_waitcnt lgkmcnt(1)
	v_add_co_u32 v54, s13, v64, v11
	v_add_co_ci_u32_e64 v55, s13, v65, v69, s13
	v_add_co_u32 v64, s13, v66, v11
	s_delay_alu instid0(VALU_DEP_1) | instskip(SKIP_2) | instid1(VALU_DEP_1)
	v_add_co_ci_u32_e64 v65, s13, v67, v69, s13
	s_waitcnt lgkmcnt(0)
	v_add_co_u32 v66, s13, v130, v11
	v_add_co_ci_u32_e64 v67, s13, v131, v69, s13
	s_set_inst_prefetch_distance 0x1
.LBB2_408:                              ;   Parent Loop BB2_55 Depth=1
                                        ;     Parent Loop BB2_312 Depth=2
                                        ;       Parent Loop BB2_314 Depth=3
                                        ; =>      This Inner Loop Header: Depth=4
	global_load_b128 v[130:133], v[54:55], off slc dlc
	global_load_b128 v[144:147], v[64:65], off slc dlc
	v_add_co_u32 v54, s13, v54, v114
	v_sub_nc_u32_e32 v2, v2, v99
	v_add_co_ci_u32_e64 v55, s13, v55, v115, s13
	v_add_co_u32 v64, s13, v64, v114
	s_delay_alu instid0(VALU_DEP_1) | instskip(NEXT) | instid1(VALU_DEP_4)
	v_add_co_ci_u32_e64 v65, s13, v65, v115, s13
	v_cmp_gt_i32_e64 s13, 16, v2
	v_sub_nc_u32_e32 v84, v84, v96
	s_delay_alu instid0(VALU_DEP_2) | instskip(SKIP_2) | instid1(VALU_DEP_1)
	s_or_b32 s26, s13, s26
	s_waitcnt vmcnt(0)
	v_add_co_u32 v130, s14, v144, v130
	v_add_co_ci_u32_e64 v131, s14, v145, v131, s14
	v_add_co_u32 v132, s14, v146, v132
	s_delay_alu instid0(VALU_DEP_1) | instskip(SKIP_2) | instid1(VALU_DEP_1)
	v_add_co_ci_u32_e64 v133, s14, v147, v133, s14
	global_store_b128 v[66:67], v[130:133], off glc slc dlc
	v_add_co_u32 v66, s14, v66, v114
	v_add_co_ci_u32_e64 v67, s14, v67, v115, s14
	s_and_not1_b32 exec_lo, exec_lo, s26
	s_cbranch_execnz .LBB2_408
; %bb.409:                              ;   in Loop: Header=BB2_314 Depth=3
	s_set_inst_prefetch_distance 0x2
	s_or_b32 exec_lo, exec_lo, s26
.LBB2_410:                              ;   in Loop: Header=BB2_314 Depth=3
	s_delay_alu instid0(SALU_CYCLE_1) | instskip(SKIP_3) | instid1(VALU_DEP_1)
	s_or_b32 exec_lo, exec_lo, s2
	v_and_b32_e32 v55, 8, v80
	s_mov_b32 s2, 0
	s_mov_b32 s14, exec_lo
                                        ; implicit-def: $vgpr69
                                        ; implicit-def: $vgpr54
	v_dual_mov_b32 v11, 0 :: v_dual_cndmask_b32 v2, v82, v55
	s_delay_alu instid0(VALU_DEP_1)
	v_cmpx_ne_u32_e32 0, v2
	s_cbranch_execz .LBB2_412
; %bb.411:                              ;   in Loop: Header=BB2_314 Depth=3
	v_cmp_lt_i32_e64 s13, 0, v84
	v_sub_nc_u32_e32 v54, v82, v55
	s_mov_b32 s2, exec_lo
	s_delay_alu instid0(VALU_DEP_2) | instskip(NEXT) | instid1(VALU_DEP_1)
	v_cndmask_b32_e64 v11, 0, v96, s13
	v_sub_nc_u32_e32 v11, v11, v84
	s_delay_alu instid0(VALU_DEP_1) | instskip(NEXT) | instid1(VALU_DEP_1)
	v_lshl_add_u32 v64, v11, 5, v83
	v_ashrrev_i32_e32 v11, 31, v64
	s_delay_alu instid0(VALU_DEP_1) | instskip(NEXT) | instid1(VALU_DEP_1)
	v_lshrrev_b32_e32 v11, 27, v11
	v_add_nc_u32_e32 v55, v64, v11
	v_cndmask_b32_e32 v11, 0, v54, vcc_lo
	s_delay_alu instid0(VALU_DEP_2) | instskip(NEXT) | instid1(VALU_DEP_2)
	v_and_b32_e32 v65, 0xffffffe0, v55
	v_add3_u32 v11, v81, v70, v11
	v_ashrrev_i32_e32 v54, 5, v55
	s_delay_alu instid0(VALU_DEP_3)
	v_sub_nc_u32_e32 v69, v64, v65
.LBB2_412:                              ;   in Loop: Header=BB2_314 Depth=3
	s_or_b32 exec_lo, exec_lo, s14
	s_delay_alu instid0(SALU_CYCLE_1)
	s_and_b32 s2, s2, exec_lo
.LBB2_413:                              ;   in Loop: Header=BB2_314 Depth=3
	s_or_b32 exec_lo, exec_lo, s5
.LBB2_414:                              ;   in Loop: Header=BB2_314 Depth=3
	s_and_saveexec_b32 s5, s2
	s_cbranch_execz .LBB2_426
; %bb.415:                              ;   in Loop: Header=BB2_314 Depth=3
	v_ashrrev_i32_e32 v55, 31, v2
	v_lshlrev_b32_e32 v64, 3, v69
	s_mov_b32 s2, exec_lo
	s_delay_alu instid0(VALU_DEP_2) | instskip(NEXT) | instid1(VALU_DEP_1)
	v_lshrrev_b32_e32 v55, 24, v55
	v_add_nc_u32_e32 v55, v2, v55
	s_delay_alu instid0(VALU_DEP_1) | instskip(SKIP_2) | instid1(VALU_DEP_3)
	v_and_b32_e32 v70, 0xffffff00, v55
	v_ashrrev_i32_e32 v65, 8, v55
	v_lshl_add_u32 v55, v54, 8, v64
	v_sub_nc_u32_e32 v80, v2, v70
	s_delay_alu instid0(VALU_DEP_3) | instskip(NEXT) | instid1(VALU_DEP_3)
	v_sub_nc_u32_e32 v54, v65, v54
	v_sub_nc_u32_e32 v82, v2, v55
	s_delay_alu instid0(VALU_DEP_3) | instskip(NEXT) | instid1(VALU_DEP_3)
	v_cmp_lt_i32_e32 vcc_lo, 7, v80
	v_add_co_ci_u32_e64 v81, s13, 0, v54, vcc_lo
	s_delay_alu instid0(VALU_DEP_3)
	v_cmpx_lt_i32_e32 7, v82
	s_cbranch_execz .LBB2_420
; %bb.416:                              ;   in Loop: Header=BB2_314 Depth=3
	s_cbranch_execnz .LBB2_1715
; %bb.417:                              ;   in Loop: Header=BB2_314 Depth=3
	ds_load_b128 v[64:67], v0
	ds_load_b64 v[83:84], v0
	v_add_nc_u32_e32 v85, v55, v11
	s_mov_b32 s26, 0
	s_delay_alu instid0(VALU_DEP_1) | instskip(SKIP_2) | instid1(VALU_DEP_1)
	v_ashrrev_i32_e32 v130, 31, v85
	s_waitcnt lgkmcnt(1)
	v_add_co_u32 v54, s13, v64, v85
	v_add_co_ci_u32_e64 v55, s13, v65, v130, s13
	v_add_co_u32 v64, s13, v66, v85
	s_delay_alu instid0(VALU_DEP_1) | instskip(SKIP_2) | instid1(VALU_DEP_1)
	v_add_co_ci_u32_e64 v65, s13, v67, v130, s13
	s_waitcnt lgkmcnt(0)
	v_add_co_u32 v66, s13, v83, v85
	v_add_co_ci_u32_e64 v67, s13, v84, v130, s13
.LBB2_418:                              ;   Parent Loop BB2_55 Depth=1
                                        ;     Parent Loop BB2_312 Depth=2
                                        ;       Parent Loop BB2_314 Depth=3
                                        ; =>      This Inner Loop Header: Depth=4
	flat_load_b64 v[83:84], v[54:55] slc dlc
	flat_load_b64 v[130:131], v[64:65] slc dlc
	v_add_co_u32 v54, s13, v54, v117
	v_sub_nc_u32_e32 v82, v82, v101
	v_add_co_ci_u32_e64 v55, s13, v55, v118, s13
	v_add_co_u32 v64, s13, v64, v117
	s_delay_alu instid0(VALU_DEP_1) | instskip(NEXT) | instid1(VALU_DEP_4)
	v_add_co_ci_u32_e64 v65, s13, v65, v118, s13
	v_cmp_gt_i32_e64 s13, 8, v82
	v_sub_nc_u32_e32 v81, v81, v96
	s_delay_alu instid0(VALU_DEP_2) | instskip(SKIP_2) | instid1(VALU_DEP_1)
	s_or_b32 s26, s13, s26
	s_waitcnt vmcnt(0) lgkmcnt(0)
	v_add_co_u32 v83, s14, v130, v83
	v_add_co_ci_u32_e64 v84, s14, v131, v84, s14
	flat_store_b64 v[66:67], v[83:84] glc slc dlc
	v_add_co_u32 v66, s14, v66, v117
	s_delay_alu instid0(VALU_DEP_1)
	v_add_co_ci_u32_e64 v67, s14, v67, v118, s14
	s_and_not1_b32 exec_lo, exec_lo, s26
	s_cbranch_execnz .LBB2_418
; %bb.419:                              ;   in Loop: Header=BB2_314 Depth=3
	s_or_b32 exec_lo, exec_lo, s26
.LBB2_420:                              ;   in Loop: Header=BB2_314 Depth=3
	s_delay_alu instid0(SALU_CYCLE_1) | instskip(SKIP_2) | instid1(VALU_DEP_1)
	s_or_b32 exec_lo, exec_lo, s2
	v_and_b32_e32 v54, 7, v2
	s_mov_b32 s2, exec_lo
	v_cndmask_b32_e32 v2, v80, v54, vcc_lo
	s_delay_alu instid0(VALU_DEP_1)
	v_cmpx_ne_u32_e32 0, v2
	s_cbranch_execz .LBB2_425
; %bb.421:                              ;   in Loop: Header=BB2_314 Depth=3
	v_cmp_lt_i32_e64 s13, 0, v81
	s_delay_alu instid0(VALU_DEP_1) | instskip(NEXT) | instid1(VALU_DEP_1)
	v_cndmask_b32_e64 v55, 0, v96, s13
	v_sub_nc_u32_e32 v55, v55, v81
	s_delay_alu instid0(VALU_DEP_1) | instskip(NEXT) | instid1(VALU_DEP_1)
	v_lshl_add_u32 v55, v55, 5, v69
	v_ashrrev_i32_e32 v64, 31, v55
	s_delay_alu instid0(VALU_DEP_1) | instskip(NEXT) | instid1(VALU_DEP_1)
	v_lshrrev_b32_e32 v64, 27, v64
	v_add_nc_u32_e32 v64, v55, v64
	s_delay_alu instid0(VALU_DEP_1) | instskip(SKIP_1) | instid1(VALU_DEP_2)
	v_and_b32_e32 v65, 0x1fffffe0, v64
	v_lshlrev_b32_e32 v64, 3, v64
	v_sub_nc_u32_e32 v55, v55, v65
	s_delay_alu instid0(VALU_DEP_2) | instskip(NEXT) | instid1(VALU_DEP_1)
	v_and_b32_e32 v64, 0xffffff00, v64
	v_lshl_add_u32 v55, v55, 3, v64
	s_delay_alu instid0(VALU_DEP_1) | instskip(NEXT) | instid1(VALU_DEP_1)
	v_sub_nc_u32_e32 v2, v2, v55
	v_cmp_lt_i32_e64 s13, 7, v2
	s_delay_alu instid0(VALU_DEP_1)
	s_and_b32 exec_lo, exec_lo, s13
	s_cbranch_execz .LBB2_425
; %bb.422:                              ;   in Loop: Header=BB2_314 Depth=3
	s_cbranch_execnz .LBB2_1783
; %bb.423:                              ;   in Loop: Header=BB2_314 Depth=3
	ds_load_b128 v[64:67], v0
	v_sub_nc_u32_e32 v54, v80, v54
	v_add_nc_u32_e32 v11, v70, v11
	ds_load_b64 v[69:70], v0
	s_mov_b32 s14, 0
	v_cndmask_b32_e32 v54, 0, v54, vcc_lo
	s_delay_alu instid0(VALU_DEP_1) | instskip(NEXT) | instid1(VALU_DEP_1)
	v_add3_u32 v11, v11, v54, v55
	v_ashrrev_i32_e32 v80, 31, v11
	s_waitcnt lgkmcnt(1)
	v_add_co_u32 v54, vcc_lo, v64, v11
	s_delay_alu instid0(VALU_DEP_2)
	v_add_co_ci_u32_e32 v55, vcc_lo, v65, v80, vcc_lo
	v_add_co_u32 v64, vcc_lo, v66, v11
	v_add_co_ci_u32_e32 v65, vcc_lo, v67, v80, vcc_lo
	s_waitcnt lgkmcnt(0)
	v_add_co_u32 v66, vcc_lo, v69, v11
	v_add_co_ci_u32_e32 v67, vcc_lo, v70, v80, vcc_lo
.LBB2_424:                              ;   Parent Loop BB2_55 Depth=1
                                        ;     Parent Loop BB2_312 Depth=2
                                        ;       Parent Loop BB2_314 Depth=3
                                        ; =>      This Inner Loop Header: Depth=4
	flat_load_b64 v[69:70], v[54:55] slc dlc
	flat_load_b64 v[80:81], v[64:65] slc dlc
	v_add_co_u32 v54, vcc_lo, v54, v117
	v_sub_nc_u32_e32 v2, v2, v101
	v_add_co_ci_u32_e32 v55, vcc_lo, v55, v118, vcc_lo
	v_add_co_u32 v64, vcc_lo, v64, v117
	v_add_co_ci_u32_e32 v65, vcc_lo, v65, v118, vcc_lo
	s_delay_alu instid0(VALU_DEP_4) | instskip(SKIP_3) | instid1(VALU_DEP_1)
	v_cmp_gt_i32_e32 vcc_lo, 8, v2
	s_or_b32 s14, vcc_lo, s14
	s_waitcnt vmcnt(0) lgkmcnt(0)
	v_add_co_u32 v69, s13, v80, v69
	v_add_co_ci_u32_e64 v70, s13, v81, v70, s13
	flat_store_b64 v[66:67], v[69:70] glc slc dlc
	v_add_co_u32 v66, s13, v66, v117
	s_delay_alu instid0(VALU_DEP_1)
	v_add_co_ci_u32_e64 v67, s13, v67, v118, s13
	s_and_not1_b32 exec_lo, exec_lo, s14
	s_cbranch_execnz .LBB2_424
.LBB2_425:                              ;   in Loop: Header=BB2_314 Depth=3
	s_or_b32 exec_lo, exec_lo, s2
.LBB2_426:                              ;   in Loop: Header=BB2_314 Depth=3
	s_delay_alu instid0(SALU_CYCLE_1)
	s_or_b32 exec_lo, exec_lo, s5
.LBB2_427:                              ;   in Loop: Header=BB2_314 Depth=3
	s_and_saveexec_b32 s5, s3
	s_cbranch_execz .LBB2_449
; %bb.428:                              ;   in Loop: Header=BB2_314 Depth=3
	s_and_saveexec_b32 s2, s4
	s_delay_alu instid0(SALU_CYCLE_1)
	s_xor_b32 s2, exec_lo, s2
	s_cbranch_execz .LBB2_446
; %bb.429:                              ;   in Loop: Header=BB2_314 Depth=3
	s_and_saveexec_b32 s13, s1
	s_cbranch_execz .LBB2_445
; %bb.430:                              ;   in Loop: Header=BB2_314 Depth=3
	s_mov_b32 s26, exec_lo
	s_mov_b32 s14, exec_lo
	v_mbcnt_lo_u32_b32 v2, s26, 0
	s_waitcnt lgkmcnt(0)
	s_waitcnt_vscnt null, 0x0
	buffer_gl1_inv
	buffer_gl0_inv
	v_cmpx_eq_u32_e32 0, v2
	s_cbranch_execz .LBB2_432
; %bb.431:                              ;   in Loop: Header=BB2_314 Depth=3
	s_bcnt1_i32_b32 s26, s26
	s_delay_alu instid0(SALU_CYCLE_1)
	v_mov_b32_e32 v2, s26
	ds_add_u64 v0, v[2:3]
	s_cbranch_execnz .LBB2_1763
.LBB2_432:                              ;   in Loop: Header=BB2_314 Depth=3
	s_or_b32 exec_lo, exec_lo, s14
	s_cbranch_execnz .LBB2_1739
; %bb.433:                              ;   in Loop: Header=BB2_314 Depth=3
	ds_load_b64 v[54:55], v0
	v_add_co_u32 v12, vcc_lo, v12, v96
	v_add_co_ci_u32_e32 v13, vcc_lo, 0, v13, vcc_lo
	s_mov_b32 s14, exec_lo
	s_waitcnt lgkmcnt(0)
	s_delay_alu instid0(VALU_DEP_1)
	v_cmpx_lt_u64_e64 v[54:55], v[12:13]
	s_cbranch_execz .LBB2_444
; %bb.434:                              ;   in Loop: Header=BB2_314 Depth=3
	s_mov_b32 s26, 0
	s_mov_b32 s39, 0
                                        ; implicit-def: $vcc_hi
                                        ; implicit-def: $sgpr38
	s_branch .LBB2_436
.LBB2_435:                              ;   in Loop: Header=BB2_436 Depth=4
	s_or_b32 exec_lo, exec_lo, s41
	s_delay_alu instid0(SALU_CYCLE_1) | instskip(NEXT) | instid1(SALU_CYCLE_1)
	s_and_b32 vcc_lo, exec_lo, vcc_lo
	s_or_b32 s26, vcc_lo, s26
	s_and_not1_b32 vcc_lo, vcc_hi, exec_lo
	s_and_b32 vcc_hi, s38, exec_lo
	s_delay_alu instid0(SALU_CYCLE_1)
	s_or_b32 vcc_hi, vcc_lo, vcc_hi
	s_and_not1_b32 exec_lo, exec_lo, s26
	s_cbranch_execz .LBB2_442
.LBB2_436:                              ;   Parent Loop BB2_55 Depth=1
                                        ;     Parent Loop BB2_312 Depth=2
                                        ;       Parent Loop BB2_314 Depth=3
                                        ; =>      This Inner Loop Header: Depth=4
	s_add_i32 s39, s39, 1
                                        ; implicit-def: $sgpr41
	s_delay_alu instid0(SALU_CYCLE_1) | instskip(SKIP_1) | instid1(SALU_CYCLE_1)
	s_cmpk_lg_i32 s39, 0x2710
	s_cselect_b32 s40, -1, 0
	s_and_b32 vcc_lo, exec_lo, s40
	s_cbranch_vccz .LBB2_440
.LBB2_437:                              ;   in Loop: Header=BB2_436 Depth=4
	s_and_not1_b32 s38, s38, exec_lo
	s_and_b32 s41, s41, exec_lo
	s_mov_b32 vcc_lo, -1
	s_or_b32 s38, s38, s41
	s_and_saveexec_b32 s41, s40
	s_cbranch_execz .LBB2_435
; %bb.438:                              ;   in Loop: Header=BB2_436 Depth=4
	s_sleep 1
	s_cbranch_execnz .LBB2_1817
; %bb.439:                              ;   in Loop: Header=BB2_436 Depth=4
	ds_load_b64 v[54:55], v0
	s_and_not1_b32 s38, s38, exec_lo
	s_waitcnt lgkmcnt(0)
	v_cmp_ge_u64_e32 vcc_lo, v[54:55], v[12:13]
	s_or_not1_b32 vcc_lo, vcc_lo, exec_lo
	s_branch .LBB2_435
.LBB2_440:                              ;   in Loop: Header=BB2_436 Depth=4
	s_cbranch_execnz .LBB2_1831
; %bb.441:                              ;   in Loop: Header=BB2_436 Depth=4
	ds_load_b64 v[54:55], v0
	s_and_not1_b32 s40, s40, exec_lo
	s_mov_b32 s39, 0
	s_mov_b32 s41, -1
	s_waitcnt lgkmcnt(0)
	flat_load_b32 v2, v[54:55] glc
	s_waitcnt vmcnt(0) lgkmcnt(0)
	buffer_gl1_inv
	buffer_gl0_inv
	v_cmp_eq_u32_e32 vcc_lo, 0, v2
	s_and_b32 vcc_lo, vcc_lo, exec_lo
	s_delay_alu instid0(SALU_CYCLE_1)
	s_or_b32 s40, s40, vcc_lo
	s_branch .LBB2_437
.LBB2_442:                              ;   in Loop: Header=BB2_314 Depth=3
	s_or_b32 exec_lo, exec_lo, s26
	s_and_saveexec_b32 s26, vcc_hi
	s_delay_alu instid0(SALU_CYCLE_1)
	s_xor_b32 s26, exec_lo, s26
	s_cbranch_execz .LBB2_444
; %bb.443:                              ;   in Loop: Header=BB2_314 Depth=3
	ds_store_b32 v0, v129
	s_cbranch_execnz .LBB2_1961
.LBB2_444:                              ;   in Loop: Header=BB2_314 Depth=3
	s_or_b32 exec_lo, exec_lo, s14
	;;#ASMSTART
	s_wakeup
	;;#ASMEND
.LBB2_445:                              ;   in Loop: Header=BB2_314 Depth=3
	s_or_b32 exec_lo, exec_lo, s13
.LBB2_446:                              ;   in Loop: Header=BB2_314 Depth=3
	s_and_not1_saveexec_b32 s2, s2
	s_cbranch_execz .LBB2_448
; %bb.447:                              ;   in Loop: Header=BB2_314 Depth=3
	s_waitcnt lgkmcnt(0)
	s_waitcnt_vscnt null, 0x0
	buffer_gl1_inv
	buffer_gl0_inv
	s_barrier
.LBB2_448:                              ;   in Loop: Header=BB2_314 Depth=3
	s_or_b32 exec_lo, exec_lo, s2
.LBB2_449:                              ;   in Loop: Header=BB2_314 Depth=3
	s_delay_alu instid0(SALU_CYCLE_1) | instskip(SKIP_1) | instid1(SALU_CYCLE_1)
	s_or_b32 exec_lo, exec_lo, s5
                                        ; implicit-def: $vgpr2
	s_and_saveexec_b32 s2, s7
	s_xor_b32 s2, exec_lo, s2
	s_cbranch_execz .LBB2_453
; %bb.450:                              ;   in Loop: Header=BB2_314 Depth=3
	v_and_b32_e32 v2, 16, v30
	v_cmp_lt_i32_e32 vcc_lo, 0, v9
	s_delay_alu instid0(VALU_DEP_2) | instskip(SKIP_1) | instid1(VALU_DEP_2)
	v_cmp_ne_u32_e64 s13, 0, v2
	v_and_b32_e32 v2, 16, v30
	s_and_b32 s13, s13, vcc_lo
	s_delay_alu instid0(SALU_CYCLE_1)
	s_and_saveexec_b32 s5, s13
	s_cbranch_execz .LBB2_452
; %bb.451:                              ;   in Loop: Header=BB2_314 Depth=3
	v_mov_b32_e32 v2, 1
	s_waitcnt lgkmcnt(0)
	s_waitcnt_vscnt null, 0x0
	buffer_gl1_inv
	buffer_gl0_inv
.LBB2_452:                              ;   in Loop: Header=BB2_314 Depth=3
	s_or_b32 exec_lo, exec_lo, s5
.LBB2_453:                              ;   in Loop: Header=BB2_314 Depth=3
	s_and_not1_saveexec_b32 s5, s2
	s_cbranch_execz .LBB2_475
; %bb.454:                              ;   in Loop: Header=BB2_314 Depth=3
	s_and_saveexec_b32 s2, s4
	s_delay_alu instid0(SALU_CYCLE_1)
	s_xor_b32 s2, exec_lo, s2
	s_cbranch_execz .LBB2_472
; %bb.455:                              ;   in Loop: Header=BB2_314 Depth=3
	s_and_saveexec_b32 s13, s1
	s_cbranch_execz .LBB2_471
; %bb.456:                              ;   in Loop: Header=BB2_314 Depth=3
	s_mov_b32 s26, exec_lo
	s_mov_b32 s14, exec_lo
	v_mbcnt_lo_u32_b32 v2, s26, 0
	;;#ASMSTART
	s_waitcnt lgkmcnt(0) vmcnt(0)
	;;#ASMEND
	s_delay_alu instid0(VALU_DEP_1)
	v_cmpx_eq_u32_e32 0, v2
	s_cbranch_execz .LBB2_458
; %bb.457:                              ;   in Loop: Header=BB2_314 Depth=3
	s_bcnt1_i32_b32 s26, s26
	s_delay_alu instid0(SALU_CYCLE_1)
	v_mov_b32_e32 v2, s26
	ds_add_u64 v0, v[2:3]
	s_cbranch_execnz .LBB2_1765
.LBB2_458:                              ;   in Loop: Header=BB2_314 Depth=3
	s_or_b32 exec_lo, exec_lo, s14
	s_cbranch_execnz .LBB2_1743
; %bb.459:                              ;   in Loop: Header=BB2_314 Depth=3
	ds_load_b64 v[54:55], v0
	v_add_co_u32 v12, vcc_lo, v12, v96
	v_add_co_ci_u32_e32 v13, vcc_lo, 0, v13, vcc_lo
	s_mov_b32 s14, exec_lo
	s_waitcnt lgkmcnt(0)
	s_delay_alu instid0(VALU_DEP_1)
	v_cmpx_lt_u64_e64 v[54:55], v[12:13]
	s_cbranch_execz .LBB2_470
; %bb.460:                              ;   in Loop: Header=BB2_314 Depth=3
	s_mov_b32 s26, 0
	s_mov_b32 s39, 0
                                        ; implicit-def: $vcc_hi
                                        ; implicit-def: $sgpr38
	s_branch .LBB2_462
.LBB2_461:                              ;   in Loop: Header=BB2_462 Depth=4
	s_or_b32 exec_lo, exec_lo, s41
	s_delay_alu instid0(SALU_CYCLE_1) | instskip(NEXT) | instid1(SALU_CYCLE_1)
	s_and_b32 vcc_lo, exec_lo, vcc_lo
	s_or_b32 s26, vcc_lo, s26
	s_and_not1_b32 vcc_lo, vcc_hi, exec_lo
	s_and_b32 vcc_hi, s38, exec_lo
	s_delay_alu instid0(SALU_CYCLE_1)
	s_or_b32 vcc_hi, vcc_lo, vcc_hi
	s_and_not1_b32 exec_lo, exec_lo, s26
	s_cbranch_execz .LBB2_468
.LBB2_462:                              ;   Parent Loop BB2_55 Depth=1
                                        ;     Parent Loop BB2_312 Depth=2
                                        ;       Parent Loop BB2_314 Depth=3
                                        ; =>      This Inner Loop Header: Depth=4
	s_add_i32 s39, s39, 1
                                        ; implicit-def: $sgpr41
	s_delay_alu instid0(SALU_CYCLE_1) | instskip(SKIP_1) | instid1(SALU_CYCLE_1)
	s_cmpk_lg_i32 s39, 0x2710
	s_cselect_b32 s40, -1, 0
	s_and_b32 vcc_lo, exec_lo, s40
	s_cbranch_vccz .LBB2_466
.LBB2_463:                              ;   in Loop: Header=BB2_462 Depth=4
	s_and_not1_b32 s38, s38, exec_lo
	s_and_b32 s41, s41, exec_lo
	s_mov_b32 vcc_lo, -1
	s_or_b32 s38, s38, s41
	s_and_saveexec_b32 s41, s40
	s_cbranch_execz .LBB2_461
; %bb.464:                              ;   in Loop: Header=BB2_462 Depth=4
	s_sleep 1
	s_cbranch_execnz .LBB2_1819
; %bb.465:                              ;   in Loop: Header=BB2_462 Depth=4
	ds_load_b64 v[54:55], v0
	s_and_not1_b32 s38, s38, exec_lo
	s_waitcnt lgkmcnt(0)
	v_cmp_ge_u64_e32 vcc_lo, v[54:55], v[12:13]
	s_or_not1_b32 vcc_lo, vcc_lo, exec_lo
	s_branch .LBB2_461
.LBB2_466:                              ;   in Loop: Header=BB2_462 Depth=4
	s_cbranch_execnz .LBB2_1839
; %bb.467:                              ;   in Loop: Header=BB2_462 Depth=4
	ds_load_b64 v[54:55], v0
	s_and_not1_b32 s40, s40, exec_lo
	s_mov_b32 s39, 0
	s_mov_b32 s41, -1
	s_waitcnt lgkmcnt(0)
	s_waitcnt_vscnt null, 0x0
	flat_load_b32 v2, v[54:55] glc
	s_waitcnt vmcnt(0) lgkmcnt(0)
	buffer_gl1_inv
	buffer_gl0_inv
	v_cmp_eq_u32_e32 vcc_lo, 0, v2
	s_and_b32 vcc_lo, vcc_lo, exec_lo
	s_delay_alu instid0(SALU_CYCLE_1)
	s_or_b32 s40, s40, vcc_lo
	s_branch .LBB2_463
.LBB2_468:                              ;   in Loop: Header=BB2_314 Depth=3
	s_or_b32 exec_lo, exec_lo, s26
	s_and_saveexec_b32 s26, vcc_hi
	s_delay_alu instid0(SALU_CYCLE_1)
	s_xor_b32 s26, exec_lo, s26
	s_cbranch_execz .LBB2_470
; %bb.469:                              ;   in Loop: Header=BB2_314 Depth=3
	ds_store_b32 v0, v129
	s_cbranch_execnz .LBB2_1963
.LBB2_470:                              ;   in Loop: Header=BB2_314 Depth=3
	s_or_b32 exec_lo, exec_lo, s14
	;;#ASMSTART
	s_wakeup
	;;#ASMEND
.LBB2_471:                              ;   in Loop: Header=BB2_314 Depth=3
	s_or_b32 exec_lo, exec_lo, s13
.LBB2_472:                              ;   in Loop: Header=BB2_314 Depth=3
	s_and_not1_saveexec_b32 s2, s2
	s_cbranch_execz .LBB2_474
; %bb.473:                              ;   in Loop: Header=BB2_314 Depth=3
	;;#ASMSTART
	s_waitcnt lgkmcnt(0) vmcnt(0)
	;;#ASMEND
	s_waitcnt lgkmcnt(0)
	s_waitcnt_vscnt null, 0x0
	s_barrier
.LBB2_474:                              ;   in Loop: Header=BB2_314 Depth=3
	s_or_b32 exec_lo, exec_lo, s2
	v_and_b32_e32 v2, 16, v30
.LBB2_475:                              ;   in Loop: Header=BB2_314 Depth=3
	s_or_b32 exec_lo, exec_lo, s5
	s_delay_alu instid0(VALU_DEP_1) | instskip(SKIP_1) | instid1(SALU_CYCLE_1)
	v_cmp_ne_u32_e32 vcc_lo, 0, v2
	s_xor_b32 s2, s6, -1
	s_and_b32 s5, vcc_lo, s2
	s_delay_alu instid0(SALU_CYCLE_1)
	s_and_saveexec_b32 s2, s5
	s_cbranch_execz .LBB2_477
; %bb.476:                              ;   in Loop: Header=BB2_314 Depth=3
	s_waitcnt lgkmcnt(0)
	s_waitcnt_vscnt null, 0x0
	flat_store_b32 v[26:27], v129
.LBB2_477:                              ;   in Loop: Header=BB2_314 Depth=3
	s_or_b32 exec_lo, exec_lo, s2
	v_and_b32_e32 v2, 48, v30
	s_mov_b32 s2, exec_lo
	s_delay_alu instid0(VALU_DEP_1)
	v_cmpx_ne_u32_e32 0, v2
	s_cbranch_execz .LBB2_479
; %bb.478:                              ;   in Loop: Header=BB2_314 Depth=3
	v_add_co_u32 v22, vcc_lo, v22, 2
	v_add_co_ci_u32_e32 v23, vcc_lo, 0, v23, vcc_lo
	s_waitcnt lgkmcnt(0)
	s_waitcnt_vscnt null, 0x0
	flat_store_b64 v[20:21], v[22:23]
.LBB2_479:                              ;   in Loop: Header=BB2_314 Depth=3
	s_or_b32 exec_lo, exec_lo, s2
	v_add_nc_u32_e32 v10, v8, v10
	v_readlane_b32 s2, v42, 22
	s_mov_b32 s13, 2
	s_mov_b32 s14, s36
	;; [unrolled: 1-line block ×3, first 2 shown]
	v_cmp_ge_i32_e32 vcc_lo, v10, v68
	s_xor_b32 s2, s2, -1
	s_mov_b32 s37, s12
	s_mov_b32 s38, s3
	s_or_b32 s2, s2, vcc_lo
	s_delay_alu instid0(SALU_CYCLE_1) | instskip(SKIP_3) | instid1(VALU_DEP_1)
	s_and_b32 s5, exec_lo, s2
	v_readlane_b32 s2, v42, 23
	s_or_b32 s21, s5, s21
	s_mov_b32 s5, 0
	v_mov_b32_e32 v2, s2
	s_mov_b32 s2, s10
	s_and_not1_b32 exec_lo, exec_lo, s21
	s_cbranch_execnz .LBB2_314
; %bb.480:                              ;   in Loop: Header=BB2_312 Depth=2
	s_or_b32 exec_lo, exec_lo, s21
.LBB2_481:                              ;   in Loop: Header=BB2_312 Depth=2
	s_delay_alu instid0(SALU_CYCLE_1) | instskip(NEXT) | instid1(SALU_CYCLE_1)
	s_or_b32 exec_lo, exec_lo, s20
	s_mov_b32 s12, exec_lo
	v_cmpx_gt_i32_e32 2, v2
	s_cbranch_execz .LBB2_565
; %bb.482:                              ;   in Loop: Header=BB2_312 Depth=2
	v_cmp_eq_u32_e64 s13, 0, v2
	s_mov_b32 s20, 0
.LBB2_483:                              ;   Parent Loop BB2_55 Depth=1
                                        ;     Parent Loop BB2_312 Depth=2
                                        ; =>    This Loop Header: Depth=3
                                        ;         Child Loop BB2_489 Depth 4
                                        ;         Child Loop BB2_519 Depth 4
	;; [unrolled: 1-line block ×3, first 2 shown]
	v_and_b32_e32 v2, 12, v30
	s_mov_b32 s26, -1
	s_mov_b32 s3, exec_lo
	s_delay_alu instid0(VALU_DEP_1)
	v_cmpx_ne_u32_e32 0, v2
	s_cbranch_execz .LBB2_497
; %bb.484:                              ;   in Loop: Header=BB2_483 Depth=3
	v_dual_mov_b32 v9, 1 :: v_dual_and_b32 v2, 8, v30
	s_mov_b32 s5, s38
	s_mov_b32 s10, s37
	;; [unrolled: 1-line block ×3, first 2 shown]
	s_delay_alu instid0(VALU_DEP_1) | instskip(SKIP_4) | instid1(VALU_DEP_1)
	v_add_co_u32 v54, vcc_lo, v28, v2
	v_add_co_ci_u32_e32 v55, vcc_lo, 0, v29, vcc_lo
	v_add_co_u32 v52, vcc_lo, v22, 2
	v_add_co_ci_u32_e32 v53, vcc_lo, 0, v23, vcc_lo
	s_mov_b32 s26, exec_lo
	v_cmpx_lt_u64_e64 v[54:55], v[52:53]
	s_cbranch_execz .LBB2_496
; %bb.485:                              ;   in Loop: Header=BB2_483 Depth=3
	v_mov_b32_e32 v9, 0
	s_mov_b32 vcc_hi, 0
                                        ; implicit-def: $sgpr36
	s_branch .LBB2_489
.LBB2_486:                              ;   in Loop: Header=BB2_489 Depth=4
	s_or_b32 exec_lo, exec_lo, s40
	v_mov_b32_e32 v11, 0
	s_or_not1_b32 s39, s39, exec_lo
.LBB2_487:                              ;   in Loop: Header=BB2_489 Depth=4
	s_or_b32 exec_lo, exec_lo, s38
	s_delay_alu instid0(VALU_DEP_1) | instskip(SKIP_2) | instid1(SALU_CYCLE_1)
	v_mov_b32_e32 v9, v11
	s_and_not1_b32 vcc_lo, s36, exec_lo
	s_and_b32 s36, s39, exec_lo
	s_or_b32 s36, vcc_lo, s36
.LBB2_488:                              ;   in Loop: Header=BB2_489 Depth=4
	s_or_b32 exec_lo, exec_lo, s37
	s_waitcnt vmcnt(0) lgkmcnt(0)
	v_add_co_u32 v54, vcc_lo, v28, v2
	v_add_co_ci_u32_e32 v55, vcc_lo, 0, v29, vcc_lo
	s_xor_b32 s37, s36, -1
	s_delay_alu instid0(VALU_DEP_1) | instskip(SKIP_1) | instid1(SALU_CYCLE_1)
	v_cmp_ge_u64_e32 vcc_lo, v[54:55], v[52:53]
	s_or_b32 vcc_lo, s37, vcc_lo
	s_and_b32 vcc_lo, exec_lo, vcc_lo
	s_delay_alu instid0(SALU_CYCLE_1) | instskip(NEXT) | instid1(SALU_CYCLE_1)
	s_or_b32 vcc_hi, vcc_lo, vcc_hi
	s_and_not1_b32 exec_lo, exec_lo, vcc_hi
	s_cbranch_execz .LBB2_495
.LBB2_489:                              ;   Parent Loop BB2_55 Depth=1
                                        ;     Parent Loop BB2_312 Depth=2
                                        ;       Parent Loop BB2_483 Depth=3
                                        ; =>      This Inner Loop Header: Depth=4
	s_sleep 1
	flat_load_b64 v[28:29], v[20:21] glc
	v_and_b32_e32 v11, 64, v30
	s_and_not1_b32 s36, s36, exec_lo
	s_mov_b32 s37, exec_lo
	s_delay_alu instid0(VALU_DEP_1)
	v_cmpx_eq_u32_e32 0, v11
	s_cbranch_execz .LBB2_488
; %bb.490:                              ;   in Loop: Header=BB2_489 Depth=4
	v_add_nc_u32_e32 v11, 1, v9
	s_mov_b32 s39, -1
	s_mov_b32 s38, exec_lo
	v_cmpx_lt_i32_e32 0x270e, v9
	s_cbranch_execz .LBB2_487
; %bb.491:                              ;   in Loop: Header=BB2_489 Depth=4
	s_cbranch_execnz .LBB2_1563
; %bb.492:                              ;   in Loop: Header=BB2_489 Depth=4
	ds_load_b64 v[54:55], v0
	s_mov_b32 s40, exec_lo
	s_waitcnt vmcnt(0) lgkmcnt(0)
	s_waitcnt_vscnt null, 0x0
	flat_load_b32 v9, v[54:55] glc
	s_waitcnt vmcnt(0) lgkmcnt(0)
	buffer_gl1_inv
	buffer_gl0_inv
	v_cmpx_ne_u32_e32 0, v9
	s_cbranch_execz .LBB2_486
; %bb.493:                              ;   in Loop: Header=BB2_489 Depth=4
	ds_store_b32 v0, v9
	s_cbranch_execnz .LBB2_1611
; %bb.494:                              ;   in Loop: Header=BB2_489 Depth=4
	v_or_b32_e32 v30, 64, v30
	s_xor_b32 s39, exec_lo, -1
	s_branch .LBB2_486
.LBB2_495:                              ;   in Loop: Header=BB2_483 Depth=3
	s_or_b32 exec_lo, exec_lo, vcc_hi
	v_and_b32_e32 v9, 12, v30
.LBB2_496:                              ;   in Loop: Header=BB2_483 Depth=3
	s_or_b32 exec_lo, exec_lo, s26
	s_delay_alu instid0(VALU_DEP_1)
	v_cmp_eq_u32_e32 vcc_lo, 0, v9
	s_mov_b32 s36, s21
	s_mov_b32 s37, s10
	;; [unrolled: 1-line block ×3, first 2 shown]
	;;#ASMSTART
	s_wakeup
	;;#ASMEND
	s_or_not1_b32 s26, vcc_lo, exec_lo
.LBB2_497:                              ;   in Loop: Header=BB2_483 Depth=3
	s_or_b32 exec_lo, exec_lo, s3
	v_sub_nc_u32_e32 v2, v68, v10
	s_xor_b32 s3, s13, -1
	s_delay_alu instid0(SALU_CYCLE_1) | instskip(NEXT) | instid1(SALU_CYCLE_1)
	s_and_b32 s3, exec_lo, s3
	s_or_b32 s20, s3, s20
	s_delay_alu instid0(VALU_DEP_1) | instskip(SKIP_1) | instid1(SALU_CYCLE_1)
	v_min_i32_e32 v8, v8, v2
	s_xor_b32 s5, s26, -1
	s_and_saveexec_b32 s3, s5
	s_cbranch_execz .LBB2_510
; %bb.498:                              ;   in Loop: Header=BB2_483 Depth=3
	v_and_b32_e32 v2, 0x108, v30
	s_mov_b32 s5, s38
	s_mov_b32 s10, s37
	s_mov_b32 s21, s36
	s_delay_alu instid0(VALU_DEP_1) | instskip(SKIP_2) | instid1(SALU_CYCLE_1)
	v_cmp_ne_u32_e32 vcc_lo, 0x108, v2
	v_and_b32_e32 v2, 7, v22
	s_and_saveexec_b32 s13, vcc_lo
	s_xor_b32 s13, exec_lo, s13
	s_delay_alu instid0(SALU_CYCLE_1)
	s_and_not1_saveexec_b32 s13, s13
	s_cbranch_execz .LBB2_500
; %bb.499:                              ;   in Loop: Header=BB2_483 Depth=3
	v_ashrrev_i32_e32 v9, 31, v8
	v_mad_u64_u32 v[52:53], null, v2, 24, v[6:7]
	s_delay_alu instid0(VALU_DEP_2)
	v_lshlrev_b64 v[54:55], 3, v[8:9]
	flat_store_b64 v[52:53], v[54:55] offset:8
.LBB2_500:                              ;   in Loop: Header=BB2_483 Depth=3
	s_or_b32 exec_lo, exec_lo, s13
	v_and_b32_e32 v9, 0x100, v30
	s_mov_b32 s13, -1
	s_mov_b32 s26, exec_lo
                                        ; implicit-def: $vgpr52_vgpr53
	s_delay_alu instid0(VALU_DEP_1)
	v_cmpx_ne_u32_e32 0, v9
	s_cbranch_execz .LBB2_505
; %bb.501:                              ;   in Loop: Header=BB2_483 Depth=3
	v_mad_u64_u32 v[54:55], null, v2, 24, v[6:7]
	s_delay_alu instid0(VALU_DEP_1) | instskip(NEXT) | instid1(VALU_DEP_1)
	v_mov_b32_e32 v9, v55
	v_mad_u64_u32 v[52:53], null, v3, 24, v[9:10]
	s_delay_alu instid0(VALU_DEP_1)
	v_mov_b32_e32 v55, v52
                                        ; implicit-def: $vgpr52_vgpr53
	flat_load_b32 v9, v[54:55]
	s_waitcnt vmcnt(0) lgkmcnt(0)
	v_cmp_ne_u32_e32 vcc_lo, 1, v9
	s_mov_b32 vcc_hi, exec_lo
	v_cmpx_eq_u32_e32 1, v9
	s_cbranch_execz .LBB2_503
; %bb.502:                              ;   in Loop: Header=BB2_483 Depth=3
	flat_load_b32 v52, v[54:55] offset:4 glc
	s_waitcnt vmcnt(0) lgkmcnt(0)
	v_ashrrev_i32_e32 v53, 31, v52
	s_delay_alu instid0(VALU_DEP_1)
	v_lshrrev_b64 v[52:53], 3, v[52:53]
.LBB2_503:                              ;   in Loop: Header=BB2_483 Depth=3
	s_or_b32 exec_lo, exec_lo, vcc_hi
	s_delay_alu instid0(SALU_CYCLE_1)
	s_or_not1_b32 s13, vcc_lo, exec_lo
	s_or_b32 exec_lo, exec_lo, s26
	s_and_saveexec_b32 s26, s13
	s_cbranch_execnz .LBB2_506
.LBB2_504:                              ;   in Loop: Header=BB2_483 Depth=3
	s_or_b32 exec_lo, exec_lo, s26
	s_cbranch_execz .LBB2_507
	s_branch .LBB2_1555
.LBB2_505:                              ;   in Loop: Header=BB2_483 Depth=3
	s_or_b32 exec_lo, exec_lo, s26
	s_and_saveexec_b32 s26, s13
	s_cbranch_execz .LBB2_504
.LBB2_506:                              ;   in Loop: Header=BB2_483 Depth=3
	v_mul_lo_u32 v9, v3, v86
	v_mul_lo_u32 v11, v2, v87
	v_mad_u64_u32 v[52:53], null, v2, v86, 0
	s_delay_alu instid0(VALU_DEP_1)
	v_add3_u32 v53, v53, v11, v9
	s_or_b32 exec_lo, exec_lo, s26
	s_cbranch_execnz .LBB2_1555
.LBB2_507:                              ;   in Loop: Header=BB2_483 Depth=3
	s_delay_alu instid0(VALU_DEP_1) | instskip(SKIP_2) | instid1(VALU_DEP_2)
	v_lshlrev_b64 v[52:53], 3, v[52:53]
	v_and_b32_e32 v2, 0x2000, v30
	s_mov_b32 s13, exec_lo
	v_add_co_u32 v52, vcc_lo, v24, v52
	s_delay_alu instid0(VALU_DEP_3)
	v_add_co_ci_u32_e32 v53, vcc_lo, v25, v53, vcc_lo
	ds_store_b64 v0, v[52:53]
	v_cmpx_ne_u32_e32 0, v2
	s_cbranch_execz .LBB2_509
; %bb.508:                              ;   in Loop: Header=BB2_483 Depth=3
	ds_load_b64 v[52:53], v0 offset:584
	s_waitcnt lgkmcnt(0)
	v_add_co_u32 v52, vcc_lo, v52, 1
	v_add_co_ci_u32_e32 v53, vcc_lo, 0, v53, vcc_lo
	ds_store_b64 v0, v[52:53] offset:584
.LBB2_509:                              ;   in Loop: Header=BB2_483 Depth=3
	s_or_b32 exec_lo, exec_lo, s13
	v_add_co_u32 v22, vcc_lo, v22, 2
	v_add_co_ci_u32_e32 v23, vcc_lo, 0, v23, vcc_lo
	s_mov_b32 s36, s21
	s_mov_b32 s37, s10
	;; [unrolled: 1-line block ×3, first 2 shown]
.LBB2_510:                              ;   in Loop: Header=BB2_483 Depth=3
	s_or_b32 exec_lo, exec_lo, s3
	s_and_saveexec_b32 s13, s38
	s_cbranch_execz .LBB2_532
; %bb.511:                              ;   in Loop: Header=BB2_483 Depth=3
	s_mov_b32 s5, s37
	s_mov_b32 s10, s36
	s_mov_b32 s21, s22
	s_mov_b32 s3, s4
	s_and_saveexec_b32 s22, s4
	s_delay_alu instid0(SALU_CYCLE_1)
	s_xor_b32 s4, exec_lo, s22
	s_cbranch_execz .LBB2_529
; %bb.512:                              ;   in Loop: Header=BB2_483 Depth=3
	s_and_saveexec_b32 s22, s1
	s_cbranch_execz .LBB2_528
; %bb.513:                              ;   in Loop: Header=BB2_483 Depth=3
	s_mov_b32 vcc_hi, exec_lo
	s_mov_b32 s26, exec_lo
	v_mbcnt_lo_u32_b32 v2, vcc_hi, 0
	s_waitcnt lgkmcnt(0)
	s_waitcnt_vscnt null, 0x0
	buffer_gl1_inv
	buffer_gl0_inv
	v_cmpx_eq_u32_e32 0, v2
	s_cbranch_execz .LBB2_515
; %bb.514:                              ;   in Loop: Header=BB2_483 Depth=3
	s_bcnt1_i32_b32 vcc_lo, vcc_hi
	s_delay_alu instid0(SALU_CYCLE_1)
	v_mov_b32_e32 v2, vcc_lo
	ds_add_u64 v0, v[2:3]
	s_cbranch_execnz .LBB2_1665
.LBB2_515:                              ;   in Loop: Header=BB2_483 Depth=3
	s_or_b32 exec_lo, exec_lo, s26
	s_cbranch_execnz .LBB2_1631
; %bb.516:                              ;   in Loop: Header=BB2_483 Depth=3
	ds_load_b64 v[52:53], v0
	v_add_co_u32 v12, vcc_lo, v12, v96
	v_add_co_ci_u32_e32 v13, vcc_lo, 0, v13, vcc_lo
	s_mov_b32 s26, exec_lo
	s_waitcnt lgkmcnt(0)
	s_delay_alu instid0(VALU_DEP_1)
	v_cmpx_lt_u64_e64 v[52:53], v[12:13]
	s_cbranch_execz .LBB2_527
; %bb.517:                              ;   in Loop: Header=BB2_483 Depth=3
	s_mov_b32 vcc_hi, 0
	s_mov_b32 s39, 0
                                        ; implicit-def: $sgpr36
                                        ; implicit-def: $sgpr37
	s_branch .LBB2_519
.LBB2_518:                              ;   in Loop: Header=BB2_519 Depth=4
	s_or_b32 exec_lo, exec_lo, s41
	s_delay_alu instid0(SALU_CYCLE_1) | instskip(NEXT) | instid1(SALU_CYCLE_1)
	s_and_b32 vcc_lo, exec_lo, vcc_lo
	s_or_b32 vcc_hi, vcc_lo, vcc_hi
	s_and_not1_b32 vcc_lo, s36, exec_lo
	s_and_b32 s36, s37, exec_lo
	s_delay_alu instid0(SALU_CYCLE_1)
	s_or_b32 s36, vcc_lo, s36
	s_and_not1_b32 exec_lo, exec_lo, vcc_hi
	s_cbranch_execz .LBB2_525
.LBB2_519:                              ;   Parent Loop BB2_55 Depth=1
                                        ;     Parent Loop BB2_312 Depth=2
                                        ;       Parent Loop BB2_483 Depth=3
                                        ; =>      This Inner Loop Header: Depth=4
	s_add_i32 s39, s39, 1
                                        ; implicit-def: $sgpr41
	s_delay_alu instid0(SALU_CYCLE_1) | instskip(SKIP_1) | instid1(SALU_CYCLE_1)
	s_cmpk_lg_i32 s39, 0x2710
	s_cselect_b32 s40, -1, 0
	s_and_b32 vcc_lo, exec_lo, s40
	s_cbranch_vccz .LBB2_523
.LBB2_520:                              ;   in Loop: Header=BB2_519 Depth=4
	s_and_not1_b32 s37, s37, exec_lo
	s_and_b32 s41, s41, exec_lo
	s_mov_b32 vcc_lo, -1
	s_or_b32 s37, s37, s41
	s_and_saveexec_b32 s41, s40
	s_cbranch_execz .LBB2_518
; %bb.521:                              ;   in Loop: Header=BB2_519 Depth=4
	s_sleep 1
	s_cbranch_execnz .LBB2_1713
; %bb.522:                              ;   in Loop: Header=BB2_519 Depth=4
	ds_load_b64 v[52:53], v0
	s_and_not1_b32 s37, s37, exec_lo
	s_waitcnt lgkmcnt(0)
	v_cmp_ge_u64_e32 vcc_lo, v[52:53], v[12:13]
	s_or_not1_b32 vcc_lo, vcc_lo, exec_lo
	s_branch .LBB2_518
.LBB2_523:                              ;   in Loop: Header=BB2_519 Depth=4
	s_cbranch_execnz .LBB2_1723
; %bb.524:                              ;   in Loop: Header=BB2_519 Depth=4
	ds_load_b64 v[52:53], v0
	s_and_not1_b32 s40, s40, exec_lo
	s_mov_b32 s39, 0
	s_mov_b32 s41, -1
	s_waitcnt lgkmcnt(0)
	flat_load_b32 v2, v[52:53] glc
	s_waitcnt vmcnt(0) lgkmcnt(0)
	buffer_gl1_inv
	buffer_gl0_inv
	v_cmp_eq_u32_e32 vcc_lo, 0, v2
	s_and_b32 vcc_lo, vcc_lo, exec_lo
	s_delay_alu instid0(SALU_CYCLE_1)
	s_or_b32 s40, s40, vcc_lo
	s_branch .LBB2_520
.LBB2_525:                              ;   in Loop: Header=BB2_483 Depth=3
	s_or_b32 exec_lo, exec_lo, vcc_hi
	s_and_saveexec_b32 vcc_lo, s36
	s_delay_alu instid0(SALU_CYCLE_1)
	s_xor_b32 vcc_lo, exec_lo, vcc_lo
	s_cbranch_execz .LBB2_527
; %bb.526:                              ;   in Loop: Header=BB2_483 Depth=3
	ds_store_b32 v0, v129
	s_cbranch_execnz .LBB2_1923
.LBB2_527:                              ;   in Loop: Header=BB2_483 Depth=3
	s_or_b32 exec_lo, exec_lo, s26
	;;#ASMSTART
	s_wakeup
	;;#ASMEND
.LBB2_528:                              ;   in Loop: Header=BB2_483 Depth=3
	s_or_b32 exec_lo, exec_lo, s22
.LBB2_529:                              ;   in Loop: Header=BB2_483 Depth=3
	s_and_not1_saveexec_b32 s4, s4
	s_cbranch_execz .LBB2_531
; %bb.530:                              ;   in Loop: Header=BB2_483 Depth=3
	s_waitcnt lgkmcnt(0)
	s_waitcnt_vscnt null, 0x0
	buffer_gl1_inv
	buffer_gl0_inv
	s_barrier
.LBB2_531:                              ;   in Loop: Header=BB2_483 Depth=3
	s_or_b32 exec_lo, exec_lo, s4
	s_mov_b32 s22, s21
	s_mov_b32 s36, s10
	;; [unrolled: 1-line block ×4, first 2 shown]
.LBB2_532:                              ;   in Loop: Header=BB2_483 Depth=3
	s_mov_b32 s21, s36
	s_mov_b32 s10, s22
	;; [unrolled: 1-line block ×3, first 2 shown]
	s_or_b32 exec_lo, exec_lo, s13
	s_mov_b32 s18, s35
                                        ; implicit-def: $vgpr2
	s_and_saveexec_b32 s3, s35
	s_delay_alu instid0(SALU_CYCLE_1)
	s_xor_b32 s13, exec_lo, s3
	s_cbranch_execz .LBB2_554
; %bb.533:                              ;   in Loop: Header=BB2_483 Depth=3
	s_mov_b32 s3, s4
	s_and_saveexec_b32 s22, s4
	s_delay_alu instid0(SALU_CYCLE_1)
	s_xor_b32 s4, exec_lo, s22
	s_cbranch_execz .LBB2_551
; %bb.534:                              ;   in Loop: Header=BB2_483 Depth=3
	s_and_saveexec_b32 s22, s1
	s_cbranch_execz .LBB2_550
; %bb.535:                              ;   in Loop: Header=BB2_483 Depth=3
	s_mov_b32 vcc_hi, exec_lo
	s_mov_b32 s26, exec_lo
	v_mbcnt_lo_u32_b32 v2, vcc_hi, 0
	;;#ASMSTART
	s_waitcnt lgkmcnt(0) vmcnt(0)
	;;#ASMEND
	s_delay_alu instid0(VALU_DEP_1)
	v_cmpx_eq_u32_e32 0, v2
	s_cbranch_execz .LBB2_537
; %bb.536:                              ;   in Loop: Header=BB2_483 Depth=3
	s_bcnt1_i32_b32 vcc_lo, vcc_hi
	s_delay_alu instid0(SALU_CYCLE_1)
	v_mov_b32_e32 v2, vcc_lo
	ds_add_u64 v0, v[2:3]
	s_cbranch_execnz .LBB2_1673
.LBB2_537:                              ;   in Loop: Header=BB2_483 Depth=3
	s_or_b32 exec_lo, exec_lo, s26
	s_cbranch_execnz .LBB2_1641
; %bb.538:                              ;   in Loop: Header=BB2_483 Depth=3
	ds_load_b64 v[52:53], v0
	v_add_co_u32 v12, vcc_lo, v12, v96
	v_add_co_ci_u32_e32 v13, vcc_lo, 0, v13, vcc_lo
	s_mov_b32 s26, exec_lo
	s_waitcnt lgkmcnt(0)
	s_delay_alu instid0(VALU_DEP_1)
	v_cmpx_lt_u64_e64 v[52:53], v[12:13]
	s_cbranch_execz .LBB2_549
; %bb.539:                              ;   in Loop: Header=BB2_483 Depth=3
	s_mov_b32 vcc_hi, 0
	s_mov_b32 s39, 0
                                        ; implicit-def: $sgpr35
                                        ; implicit-def: $sgpr36
	s_branch .LBB2_541
.LBB2_540:                              ;   in Loop: Header=BB2_541 Depth=4
	s_or_b32 exec_lo, exec_lo, s41
	s_delay_alu instid0(SALU_CYCLE_1) | instskip(NEXT) | instid1(SALU_CYCLE_1)
	s_and_b32 vcc_lo, exec_lo, vcc_lo
	s_or_b32 vcc_hi, vcc_lo, vcc_hi
	s_and_not1_b32 vcc_lo, s35, exec_lo
	s_and_b32 s35, s36, exec_lo
	s_delay_alu instid0(SALU_CYCLE_1)
	s_or_b32 s35, vcc_lo, s35
	s_and_not1_b32 exec_lo, exec_lo, vcc_hi
	s_cbranch_execz .LBB2_547
.LBB2_541:                              ;   Parent Loop BB2_55 Depth=1
                                        ;     Parent Loop BB2_312 Depth=2
                                        ;       Parent Loop BB2_483 Depth=3
                                        ; =>      This Inner Loop Header: Depth=4
	s_add_i32 s39, s39, 1
                                        ; implicit-def: $sgpr41
	s_delay_alu instid0(SALU_CYCLE_1) | instskip(SKIP_1) | instid1(SALU_CYCLE_1)
	s_cmpk_lg_i32 s39, 0x2710
	s_cselect_b32 s40, -1, 0
	s_and_b32 vcc_lo, exec_lo, s40
	s_cbranch_vccz .LBB2_545
.LBB2_542:                              ;   in Loop: Header=BB2_541 Depth=4
	s_and_not1_b32 s36, s36, exec_lo
	s_and_b32 s41, s41, exec_lo
	s_mov_b32 vcc_lo, -1
	s_or_b32 s36, s36, s41
	s_and_saveexec_b32 s41, s40
	s_cbranch_execz .LBB2_540
; %bb.543:                              ;   in Loop: Header=BB2_541 Depth=4
	s_sleep 1
	s_cbranch_execnz .LBB2_1717
; %bb.544:                              ;   in Loop: Header=BB2_541 Depth=4
	ds_load_b64 v[52:53], v0
	s_and_not1_b32 s36, s36, exec_lo
	s_waitcnt lgkmcnt(0)
	v_cmp_ge_u64_e32 vcc_lo, v[52:53], v[12:13]
	s_or_not1_b32 vcc_lo, vcc_lo, exec_lo
	s_branch .LBB2_540
.LBB2_545:                              ;   in Loop: Header=BB2_541 Depth=4
	s_cbranch_execnz .LBB2_1735
; %bb.546:                              ;   in Loop: Header=BB2_541 Depth=4
	ds_load_b64 v[52:53], v0
	s_and_not1_b32 s40, s40, exec_lo
	s_mov_b32 s39, 0
	s_mov_b32 s41, -1
	s_waitcnt lgkmcnt(0)
	s_waitcnt_vscnt null, 0x0
	flat_load_b32 v2, v[52:53] glc
	s_waitcnt vmcnt(0) lgkmcnt(0)
	buffer_gl1_inv
	buffer_gl0_inv
	v_cmp_eq_u32_e32 vcc_lo, 0, v2
	s_and_b32 vcc_lo, vcc_lo, exec_lo
	s_delay_alu instid0(SALU_CYCLE_1)
	s_or_b32 s40, s40, vcc_lo
	s_branch .LBB2_542
.LBB2_547:                              ;   in Loop: Header=BB2_483 Depth=3
	s_or_b32 exec_lo, exec_lo, vcc_hi
	s_and_saveexec_b32 vcc_lo, s35
	s_delay_alu instid0(SALU_CYCLE_1)
	s_xor_b32 vcc_lo, exec_lo, vcc_lo
	s_cbranch_execz .LBB2_549
; %bb.548:                              ;   in Loop: Header=BB2_483 Depth=3
	ds_store_b32 v0, v129
	s_cbranch_execnz .LBB2_1927
.LBB2_549:                              ;   in Loop: Header=BB2_483 Depth=3
	s_or_b32 exec_lo, exec_lo, s26
	;;#ASMSTART
	s_wakeup
	;;#ASMEND
.LBB2_550:                              ;   in Loop: Header=BB2_483 Depth=3
	s_or_b32 exec_lo, exec_lo, s22
.LBB2_551:                              ;   in Loop: Header=BB2_483 Depth=3
	s_and_not1_saveexec_b32 s4, s4
	s_cbranch_execz .LBB2_553
; %bb.552:                              ;   in Loop: Header=BB2_483 Depth=3
	;;#ASMSTART
	s_waitcnt lgkmcnt(0) vmcnt(0)
	;;#ASMEND
	s_waitcnt lgkmcnt(0)
	s_waitcnt_vscnt null, 0x0
	s_barrier
.LBB2_553:                              ;   in Loop: Header=BB2_483 Depth=3
	s_or_b32 exec_lo, exec_lo, s4
	v_and_b32_e32 v2, 16, v30
	s_mov_b32 s4, s3
.LBB2_554:                              ;   in Loop: Header=BB2_483 Depth=3
	s_and_not1_saveexec_b32 s3, s13
	s_cbranch_execz .LBB2_559
; %bb.555:                              ;   in Loop: Header=BB2_483 Depth=3
	s_cbranch_execnz .LBB2_1577
; %bb.556:                              ;   in Loop: Header=BB2_483 Depth=3
	ds_load_b32 v2, v0
	v_cmp_lt_i32_e32 vcc_lo, 0, v8
	s_waitcnt lgkmcnt(0)
	v_readfirstlane_b32 s13, v2
	v_and_b32_e32 v2, 16, v30
	s_delay_alu instid0(VALU_DEP_2) | instskip(NEXT) | instid1(VALU_DEP_1)
	s_cmp_eq_u32 s13, 0
	v_cmp_ne_u32_e64 s13, 0, v2
	s_cselect_b32 s22, -1, 0
	v_and_b32_e32 v2, 16, v30
	s_and_b32 s22, vcc_lo, s22
	s_delay_alu instid0(VALU_DEP_2) | instid1(SALU_CYCLE_1)
	s_and_b32 s22, s13, s22
	s_delay_alu instid0(SALU_CYCLE_1)
	s_and_saveexec_b32 s13, s22
	s_cbranch_execz .LBB2_558
; %bb.557:                              ;   in Loop: Header=BB2_483 Depth=3
	v_mov_b32_e32 v2, 1
	s_waitcnt_vscnt null, 0x0
	buffer_gl1_inv
	buffer_gl0_inv
.LBB2_558:                              ;   in Loop: Header=BB2_483 Depth=3
	s_or_b32 exec_lo, exec_lo, s13
.LBB2_559:                              ;   in Loop: Header=BB2_483 Depth=3
	s_delay_alu instid0(SALU_CYCLE_1) | instskip(SKIP_2) | instid1(SALU_CYCLE_1)
	s_or_b32 exec_lo, exec_lo, s3
	v_cmp_ne_u32_e32 vcc_lo, 0, v2
	s_xor_b32 s3, s6, -1
	s_and_b32 s13, vcc_lo, s3
	s_delay_alu instid0(SALU_CYCLE_1)
	s_and_saveexec_b32 s3, s13
	s_cbranch_execz .LBB2_561
; %bb.560:                              ;   in Loop: Header=BB2_483 Depth=3
	s_waitcnt lgkmcnt(0)
	s_waitcnt_vscnt null, 0x0
	flat_store_b32 v[26:27], v129
.LBB2_561:                              ;   in Loop: Header=BB2_483 Depth=3
	s_or_b32 exec_lo, exec_lo, s3
	v_and_b32_e32 v2, 48, v30
	s_mov_b32 s3, exec_lo
	s_delay_alu instid0(VALU_DEP_1)
	v_cmpx_ne_u32_e32 0, v2
	s_cbranch_execz .LBB2_563
; %bb.562:                              ;   in Loop: Header=BB2_483 Depth=3
	v_add_co_u32 v22, vcc_lo, v22, 2
	v_add_co_ci_u32_e32 v23, vcc_lo, 0, v23, vcc_lo
	s_waitcnt lgkmcnt(0)
	s_waitcnt_vscnt null, 0x0
	flat_store_b64 v[20:21], v[22:23]
.LBB2_563:                              ;   in Loop: Header=BB2_483 Depth=3
	s_or_b32 exec_lo, exec_lo, s3
	v_add_nc_u32_e32 v10, v8, v10
	s_mov_b32 s13, 0
	s_mov_b32 s35, s18
	;; [unrolled: 1-line block ×5, first 2 shown]
	s_and_not1_b32 exec_lo, exec_lo, s20
	s_cbranch_execnz .LBB2_483
; %bb.564:                              ;   in Loop: Header=BB2_312 Depth=2
	s_or_b32 exec_lo, exec_lo, s20
.LBB2_565:                              ;   in Loop: Header=BB2_312 Depth=2
	s_delay_alu instid0(SALU_CYCLE_1) | instskip(SKIP_1) | instid1(SALU_CYCLE_1)
	s_or_b32 exec_lo, exec_lo, s12
	s_add_i32 s15, s15, 1
	s_cmp_eq_u32 s15, s25
	s_cbranch_scc0 .LBB2_312
; %bb.566:                              ;   in Loop: Header=BB2_55 Depth=1
	s_mov_b32 s21, s17
.LBB2_567:                              ;   in Loop: Header=BB2_55 Depth=1
	v_mul_lo_u32 v2, v39, s25
	v_mul_lo_u32 v10, v38, s27
	v_mad_u64_u32 v[8:9], null, v38, s25, 0
	v_mov_b32_e32 v54, 0
	s_mov_b32 s15, 0
	s_delay_alu instid0(VALU_DEP_2) | instskip(NEXT) | instid1(VALU_DEP_3)
	v_add3_u32 v9, v9, v10, v2
	v_sub_co_u32 v10, vcc_lo, v48, v8
	s_delay_alu instid0(VALU_DEP_2) | instskip(NEXT) | instid1(VALU_DEP_1)
	v_sub_co_ci_u32_e32 v11, vcc_lo, v49, v9, vcc_lo
	v_cmp_lt_i64_e32 vcc_lo, v[38:39], v[10:11]
	v_cndmask_b32_e32 v10, v10, v38, vcc_lo
	s_delay_alu instid0(VALU_DEP_1) | instskip(SKIP_1) | instid1(VALU_DEP_2)
	v_max_i32_e32 v130, 0, v10
	v_cmp_lt_i32_e32 vcc_lo, 0, v10
	v_add_nc_u32_e32 v2, 31, v130
	s_and_b32 s5, s14, vcc_lo
	s_delay_alu instid0(VALU_DEP_1) | instskip(NEXT) | instid1(VALU_DEP_1)
	v_lshrrev_b32_e32 v2, 1, v2
	v_dual_mov_b32 v2, 0 :: v_dual_and_b32 v11, 0x3ffffff0, v2
	s_delay_alu instid0(VALU_DEP_1)
	v_max_i32_e32 v52, s16, v11
	s_and_saveexec_b32 s3, s5
	s_cbranch_execz .LBB2_827
; %bb.568:                              ;   in Loop: Header=BB2_55 Depth=1
	v_add_co_u32 v8, vcc_lo, v8, v50
	v_add_co_ci_u32_e32 v9, vcc_lo, v9, v51, vcc_lo
	v_mov_b32_e32 v54, 0
	s_mov_b32 s10, 1
	s_mov_b32 s13, -1
	s_delay_alu instid0(VALU_DEP_2)
	v_lshlrev_b64 v[64:65], 3, v[8:9]
	v_writelane_b32 v42, s3, 7
.LBB2_569:                              ;   Parent Loop BB2_55 Depth=1
                                        ; =>  This Loop Header: Depth=2
                                        ;       Child Loop BB2_578 Depth 3
                                        ;       Child Loop BB2_610 Depth 3
	;; [unrolled: 1-line block ×4, first 2 shown]
                                        ;         Child Loop BB2_668 Depth 4
                                        ;       Child Loop BB2_680 Depth 3
                                        ;         Child Loop BB2_681 Depth 4
                                        ;       Child Loop BB2_697 Depth 3
	;; [unrolled: 2-line block ×4, first 2 shown]
                                        ;       Child Loop BB2_744 Depth 3
                                        ;       Child Loop BB2_759 Depth 3
	;; [unrolled: 1-line block ×5, first 2 shown]
	s_and_saveexec_b32 s3, s0
	s_cbranch_execz .LBB2_572
; %bb.570:                              ;   in Loop: Header=BB2_569 Depth=2
	s_cbranch_execnz .LBB2_1545
; %bb.571:                              ;   in Loop: Header=BB2_569 Depth=2
	ds_load_2addr_b64 v[8:11], v0 offset1:1
	ds_load_b64 v[66:67], v0
	v_ashrrev_i32_e32 v55, 31, v54
	s_mov_b32 s5, s13
	s_delay_alu instid0(VALU_DEP_1)
	v_lshlrev_b64 v[68:69], 3, v[54:55]
	s_waitcnt lgkmcnt(1)
	v_add_co_u32 v2, vcc_lo, v8, v64
	v_add_co_ci_u32_e32 v9, vcc_lo, v9, v65, vcc_lo
	v_add_co_u32 v10, vcc_lo, v10, v64
	v_add_co_ci_u32_e32 v11, vcc_lo, v11, v65, vcc_lo
	s_waitcnt lgkmcnt(0)
	v_add_co_u32 v53, vcc_lo, v66, v64
	v_add_co_ci_u32_e32 v55, vcc_lo, v67, v65, vcc_lo
	v_add_co_u32 v8, vcc_lo, v2, v68
	v_add_co_ci_u32_e32 v9, vcc_lo, v9, v69, vcc_lo
	s_delay_alu instid0(VALU_DEP_4) | instskip(NEXT) | instid1(VALU_DEP_4)
	v_add_co_u32 v2, vcc_lo, v53, v68
	v_add_co_ci_u32_e32 v53, vcc_lo, v55, v69, vcc_lo
	v_cmp_ne_u64_e32 vcc_lo, 0, v[66:67]
	v_add_co_u32 v10, s13, v10, v68
	s_delay_alu instid0(VALU_DEP_1)
	v_add_co_ci_u32_e64 v11, s13, v11, v69, s13
	s_mov_b32 s13, s5
	v_dual_cndmask_b32 v67, 0, v53 :: v_dual_cndmask_b32 v66, 0, v2
	ds_store_b64 v0, v[8:9]
	ds_store_b64 v0, v[10:11]
	;; [unrolled: 1-line block ×3, first 2 shown]
.LBB2_572:                              ;   in Loop: Header=BB2_569 Depth=2
	s_or_b32 exec_lo, exec_lo, s3
	v_and_b32_e32 v2, 12, v30
	s_mov_b32 s26, -1
	s_mov_b32 s3, exec_lo
	s_delay_alu instid0(VALU_DEP_1)
	v_cmpx_ne_u32_e32 0, v2
	s_cbranch_execz .LBB2_586
; %bb.573:                              ;   in Loop: Header=BB2_569 Depth=2
	v_and_b32_e32 v2, 8, v30
	s_mov_b32 s5, s38
	s_mov_b32 s12, s13
	;; [unrolled: 1-line block ×4, first 2 shown]
	v_add_co_u32 v10, vcc_lo, v28, v2
	v_add_co_ci_u32_e32 v11, vcc_lo, 0, v29, vcc_lo
	v_add_co_u32 v8, vcc_lo, v22, 2
	v_add_co_ci_u32_e32 v9, vcc_lo, 0, v23, vcc_lo
	s_mov_b32 s17, s36
	s_mov_b32 s20, s22
	s_delay_alu instid0(VALU_DEP_1)
	v_cmp_lt_u64_e32 vcc_lo, v[10:11], v[8:9]
	v_mov_b32_e32 v10, 1
	s_and_saveexec_b32 s22, vcc_lo
	s_cbranch_execz .LBB2_585
; %bb.574:                              ;   in Loop: Header=BB2_569 Depth=2
	v_mov_b32_e32 v10, 0
	s_mov_b32 s26, 0
                                        ; implicit-def: $vcc_hi
	s_branch .LBB2_578
.LBB2_575:                              ;   in Loop: Header=BB2_578 Depth=3
	s_or_b32 exec_lo, exec_lo, s39
	v_mov_b32_e32 v11, 0
	s_or_not1_b32 s38, s38, exec_lo
.LBB2_576:                              ;   in Loop: Header=BB2_578 Depth=3
	s_or_b32 exec_lo, exec_lo, s37
	s_delay_alu instid0(VALU_DEP_1) | instskip(SKIP_2) | instid1(SALU_CYCLE_1)
	v_mov_b32_e32 v10, v11
	s_and_not1_b32 vcc_lo, vcc_hi, exec_lo
	s_and_b32 vcc_hi, s38, exec_lo
	s_or_b32 vcc_hi, vcc_lo, vcc_hi
.LBB2_577:                              ;   in Loop: Header=BB2_578 Depth=3
	s_or_b32 exec_lo, exec_lo, s36
	s_waitcnt vmcnt(0) lgkmcnt(0)
	v_add_co_u32 v66, vcc_lo, v28, v2
	v_add_co_ci_u32_e32 v67, vcc_lo, 0, v29, vcc_lo
	s_delay_alu instid0(VALU_DEP_1) | instskip(SKIP_1) | instid1(SALU_CYCLE_1)
	v_cmp_ge_u64_e32 vcc_lo, v[66:67], v[8:9]
	s_xor_b32 s36, vcc_hi, -1
	s_or_b32 vcc_lo, s36, vcc_lo
	s_delay_alu instid0(SALU_CYCLE_1) | instskip(NEXT) | instid1(SALU_CYCLE_1)
	s_and_b32 vcc_lo, exec_lo, vcc_lo
	s_or_b32 s26, vcc_lo, s26
	s_delay_alu instid0(SALU_CYCLE_1)
	s_and_not1_b32 exec_lo, exec_lo, s26
	s_cbranch_execz .LBB2_584
.LBB2_578:                              ;   Parent Loop BB2_55 Depth=1
                                        ;     Parent Loop BB2_569 Depth=2
                                        ; =>    This Inner Loop Header: Depth=3
	s_sleep 1
	flat_load_b64 v[28:29], v[20:21] glc
	v_and_b32_e32 v11, 64, v30
	s_and_not1_b32 vcc_hi, vcc_hi, exec_lo
	s_mov_b32 s36, exec_lo
	s_delay_alu instid0(VALU_DEP_1)
	v_cmpx_eq_u32_e32 0, v11
	s_cbranch_execz .LBB2_577
; %bb.579:                              ;   in Loop: Header=BB2_578 Depth=3
	v_add_nc_u32_e32 v11, 1, v10
	s_mov_b32 s38, -1
	s_mov_b32 s37, exec_lo
	v_cmpx_lt_i32_e32 0x270e, v10
	s_cbranch_execz .LBB2_576
; %bb.580:                              ;   in Loop: Header=BB2_578 Depth=3
	s_cbranch_execnz .LBB2_1571
; %bb.581:                              ;   in Loop: Header=BB2_578 Depth=3
	ds_load_b64 v[10:11], v0
	s_mov_b32 s39, exec_lo
	s_waitcnt vmcnt(0) lgkmcnt(0)
	s_waitcnt_vscnt null, 0x0
	flat_load_b32 v10, v[10:11] glc
	s_waitcnt vmcnt(0) lgkmcnt(0)
	buffer_gl1_inv
	buffer_gl0_inv
	v_cmpx_ne_u32_e32 0, v10
	s_cbranch_execz .LBB2_575
; %bb.582:                              ;   in Loop: Header=BB2_578 Depth=3
	ds_store_b32 v0, v10
	s_cbranch_execnz .LBB2_1625
; %bb.583:                              ;   in Loop: Header=BB2_578 Depth=3
	v_or_b32_e32 v30, 64, v30
	s_xor_b32 s38, exec_lo, -1
	s_branch .LBB2_575
.LBB2_584:                              ;   in Loop: Header=BB2_569 Depth=2
	s_or_b32 exec_lo, exec_lo, s26
	v_and_b32_e32 v10, 12, v30
.LBB2_585:                              ;   in Loop: Header=BB2_569 Depth=2
	s_or_b32 exec_lo, exec_lo, s22
	s_delay_alu instid0(VALU_DEP_1)
	v_cmp_eq_u32_e32 vcc_lo, 0, v10
	s_mov_b32 s22, s20
	s_mov_b32 s36, s17
	;; [unrolled: 1-line block ×4, first 2 shown]
	s_or_not1_b32 s26, vcc_lo, exec_lo
	s_mov_b32 s13, s12
	s_mov_b32 s38, s5
	;;#ASMSTART
	s_wakeup
	;;#ASMEND
.LBB2_586:                              ;   in Loop: Header=BB2_569 Depth=2
	s_or_b32 exec_lo, exec_lo, s3
	v_sub_nc_u32_e32 v2, v130, v54
	s_xor_b32 s5, s26, -1
	s_delay_alu instid0(VALU_DEP_1)
	v_min_i32_e32 v52, v52, v2
	s_and_saveexec_b32 s3, s5
	s_cbranch_execz .LBB2_601
; %bb.587:                              ;   in Loop: Header=BB2_569 Depth=2
	v_and_b32_e32 v2, 0x108, v30
	s_mov_b32 vcc_hi, s29
	s_mov_b32 s29, s28
	s_mov_b32 s28, s7
	;; [unrolled: 1-line block ×14, first 2 shown]
	s_mov_b32 s13, exec_lo
	v_cmpx_ne_u32_e32 0x108, v2
	s_xor_b32 s13, exec_lo, s13
                                        ; implicit-def: $vgpr8_vgpr9
; %bb.588:                              ;   in Loop: Header=BB2_569 Depth=2
	v_and_b32_e32 v8, 7, v22
; %bb.589:                              ;   in Loop: Header=BB2_569 Depth=2
	s_and_not1_saveexec_b32 s13, s13
	s_cbranch_execz .LBB2_591
; %bb.590:                              ;   in Loop: Header=BB2_569 Depth=2
	v_and_b32_e32 v8, 7, v22
	v_ashrrev_i32_e32 v53, 31, v52
	s_delay_alu instid0(VALU_DEP_2) | instskip(NEXT) | instid1(VALU_DEP_2)
	v_mad_u64_u32 v[9:10], null, v8, 24, v[6:7]
	v_lshlrev_b64 v[66:67], 3, v[52:53]
	flat_store_b64 v[9:10], v[66:67] offset:8
.LBB2_591:                              ;   in Loop: Header=BB2_569 Depth=2
	s_or_b32 exec_lo, exec_lo, s13
	v_and_b32_e32 v2, 0x100, v30
	s_mov_b32 s13, -1
	s_mov_b32 s18, exec_lo
                                        ; implicit-def: $vgpr9_vgpr10
	s_delay_alu instid0(VALU_DEP_1)
	v_cmpx_ne_u32_e32 0, v2
	s_cbranch_execz .LBB2_596
; %bb.592:                              ;   in Loop: Header=BB2_569 Depth=2
	v_mad_u64_u32 v[66:67], null, v8, 24, v[6:7]
	s_mov_b32 s22, exec_lo
	s_delay_alu instid0(VALU_DEP_1) | instskip(NEXT) | instid1(VALU_DEP_1)
	v_mov_b32_e32 v2, v67
	v_mad_u64_u32 v[9:10], null, v3, 24, v[2:3]
	s_delay_alu instid0(VALU_DEP_1)
	v_mov_b32_e32 v67, v9
                                        ; implicit-def: $vgpr9_vgpr10
	flat_load_b32 v2, v[66:67]
	s_waitcnt vmcnt(0) lgkmcnt(0)
	v_cmp_ne_u32_e32 vcc_lo, 1, v2
	v_cmpx_eq_u32_e32 1, v2
	s_cbranch_execz .LBB2_594
; %bb.593:                              ;   in Loop: Header=BB2_569 Depth=2
	flat_load_b32 v9, v[66:67] offset:4 glc
	s_waitcnt vmcnt(0) lgkmcnt(0)
	v_ashrrev_i32_e32 v10, 31, v9
	s_delay_alu instid0(VALU_DEP_1)
	v_lshrrev_b64 v[9:10], 3, v[9:10]
.LBB2_594:                              ;   in Loop: Header=BB2_569 Depth=2
	s_or_b32 exec_lo, exec_lo, s22
	s_delay_alu instid0(SALU_CYCLE_1)
	s_or_not1_b32 s13, vcc_lo, exec_lo
	s_or_b32 exec_lo, exec_lo, s18
	s_and_saveexec_b32 s18, s13
	s_cbranch_execnz .LBB2_597
.LBB2_595:                              ;   in Loop: Header=BB2_569 Depth=2
	s_or_b32 exec_lo, exec_lo, s18
	s_cbranch_execz .LBB2_598
	s_branch .LBB2_1565
.LBB2_596:                              ;   in Loop: Header=BB2_569 Depth=2
	s_or_b32 exec_lo, exec_lo, s18
	s_and_saveexec_b32 s18, s13
	s_cbranch_execz .LBB2_595
.LBB2_597:                              ;   in Loop: Header=BB2_569 Depth=2
	v_mul_lo_u32 v2, v3, v86
	v_mul_lo_u32 v11, v8, v87
	v_mad_u64_u32 v[9:10], null, v8, v86, 0
	s_delay_alu instid0(VALU_DEP_1)
	v_add3_u32 v10, v10, v11, v2
	s_or_b32 exec_lo, exec_lo, s18
	s_cbranch_execnz .LBB2_1565
.LBB2_598:                              ;   in Loop: Header=BB2_569 Depth=2
	s_delay_alu instid0(VALU_DEP_1) | instskip(SKIP_2) | instid1(VALU_DEP_2)
	v_lshlrev_b64 v[8:9], 3, v[9:10]
	v_and_b32_e32 v2, 0x2000, v30
	s_mov_b32 s13, exec_lo
	v_add_co_u32 v8, vcc_lo, v24, v8
	s_delay_alu instid0(VALU_DEP_3)
	v_add_co_ci_u32_e32 v9, vcc_lo, v25, v9, vcc_lo
	ds_store_b64 v0, v[8:9]
	v_cmpx_ne_u32_e32 0, v2
	s_cbranch_execz .LBB2_600
; %bb.599:                              ;   in Loop: Header=BB2_569 Depth=2
	ds_load_b64 v[8:9], v0 offset:584
	s_waitcnt lgkmcnt(0)
	v_add_co_u32 v8, vcc_lo, v8, 1
	v_add_co_ci_u32_e32 v9, vcc_lo, 0, v9, vcc_lo
	ds_store_b64 v0, v[8:9] offset:584
.LBB2_600:                              ;   in Loop: Header=BB2_569 Depth=2
	s_or_b32 exec_lo, exec_lo, s13
	v_add_co_u32 v22, vcc_lo, v22, 2
	v_add_co_ci_u32_e32 v23, vcc_lo, 0, v23, vcc_lo
	s_mov_b32 s18, s14
	s_mov_b32 s22, s2
	;; [unrolled: 1-line block ×14, first 2 shown]
	s_mov_b32 s29, vcc_hi
.LBB2_601:                              ;   in Loop: Header=BB2_569 Depth=2
	v_writelane_b32 v42, s13, 8
	v_writelane_b32 v42, s10, 9
	;; [unrolled: 1-line block ×14, first 2 shown]
	s_or_b32 exec_lo, exec_lo, s3
	s_and_saveexec_b32 s5, s38
	s_mov_b32 vcc_hi, s19
	s_mov_b32 s12, s21
	s_cbranch_execz .LBB2_623
; %bb.602:                              ;   in Loop: Header=BB2_569 Depth=2
	s_and_saveexec_b32 s3, s4
	s_delay_alu instid0(SALU_CYCLE_1)
	s_xor_b32 s3, exec_lo, s3
	s_cbranch_execz .LBB2_620
; %bb.603:                              ;   in Loop: Header=BB2_569 Depth=2
	s_and_saveexec_b32 s10, s1
	s_cbranch_execz .LBB2_619
; %bb.604:                              ;   in Loop: Header=BB2_569 Depth=2
	s_mov_b32 s14, exec_lo
	s_mov_b32 s13, exec_lo
	v_mbcnt_lo_u32_b32 v2, s14, 0
	s_waitcnt lgkmcnt(0)
	s_waitcnt_vscnt null, 0x0
	buffer_gl1_inv
	buffer_gl0_inv
	v_cmpx_eq_u32_e32 0, v2
	s_cbranch_execz .LBB2_606
; %bb.605:                              ;   in Loop: Header=BB2_569 Depth=2
	s_bcnt1_i32_b32 s14, s14
	s_delay_alu instid0(SALU_CYCLE_1)
	v_mov_b32_e32 v2, s14
	ds_add_u64 v0, v[2:3]
	s_cbranch_execnz .LBB2_1679
.LBB2_606:                              ;   in Loop: Header=BB2_569 Depth=2
	s_or_b32 exec_lo, exec_lo, s13
	s_cbranch_execnz .LBB2_1653
; %bb.607:                              ;   in Loop: Header=BB2_569 Depth=2
	ds_load_b64 v[8:9], v0
	v_add_co_u32 v12, vcc_lo, v12, v96
	v_add_co_ci_u32_e32 v13, vcc_lo, 0, v13, vcc_lo
	s_mov_b32 s13, exec_lo
	s_waitcnt lgkmcnt(0)
	s_delay_alu instid0(VALU_DEP_1)
	v_cmpx_lt_u64_e64 v[8:9], v[12:13]
	s_cbranch_execz .LBB2_618
; %bb.608:                              ;   in Loop: Header=BB2_569 Depth=2
	s_mov_b32 s14, 0
	s_mov_b32 s17, 0
                                        ; implicit-def: $sgpr15
                                        ; implicit-def: $sgpr16
	s_branch .LBB2_610
.LBB2_609:                              ;   in Loop: Header=BB2_610 Depth=3
	s_or_b32 exec_lo, exec_lo, s20
	s_delay_alu instid0(SALU_CYCLE_1) | instskip(NEXT) | instid1(SALU_CYCLE_1)
	s_and_b32 s18, exec_lo, s19
	s_or_b32 s14, s18, s14
	s_and_not1_b32 s15, s15, exec_lo
	s_and_b32 s18, s16, exec_lo
	s_delay_alu instid0(SALU_CYCLE_1)
	s_or_b32 s15, s15, s18
	s_and_not1_b32 exec_lo, exec_lo, s14
	s_cbranch_execz .LBB2_616
.LBB2_610:                              ;   Parent Loop BB2_55 Depth=1
                                        ;     Parent Loop BB2_569 Depth=2
                                        ; =>    This Inner Loop Header: Depth=3
	s_add_i32 s17, s17, 1
                                        ; implicit-def: $sgpr19
	s_delay_alu instid0(SALU_CYCLE_1) | instskip(SKIP_1) | instid1(SALU_CYCLE_1)
	s_cmpk_lg_i32 s17, 0x2710
	s_cselect_b32 s18, -1, 0
	s_and_b32 vcc_lo, exec_lo, s18
	s_cbranch_vccz .LBB2_614
.LBB2_611:                              ;   in Loop: Header=BB2_610 Depth=3
	s_and_not1_b32 s16, s16, exec_lo
	s_and_b32 s20, s19, exec_lo
	s_mov_b32 s19, -1
	s_or_b32 s16, s16, s20
	s_and_saveexec_b32 s20, s18
	s_cbranch_execz .LBB2_609
; %bb.612:                              ;   in Loop: Header=BB2_610 Depth=3
	s_sleep 1
	s_cbranch_execnz .LBB2_1727
; %bb.613:                              ;   in Loop: Header=BB2_610 Depth=3
	ds_load_b64 v[8:9], v0
	s_and_not1_b32 s16, s16, exec_lo
	s_waitcnt lgkmcnt(0)
	v_cmp_ge_u64_e32 vcc_lo, v[8:9], v[12:13]
	s_or_not1_b32 s19, vcc_lo, exec_lo
	s_branch .LBB2_609
.LBB2_614:                              ;   in Loop: Header=BB2_610 Depth=3
	s_cbranch_execnz .LBB2_1741
; %bb.615:                              ;   in Loop: Header=BB2_610 Depth=3
	ds_load_b64 v[8:9], v0
	s_and_not1_b32 s18, s18, exec_lo
	s_mov_b32 s17, 0
	s_mov_b32 s19, -1
	s_waitcnt lgkmcnt(0)
	flat_load_b32 v2, v[8:9] glc
	s_waitcnt vmcnt(0) lgkmcnt(0)
	buffer_gl1_inv
	buffer_gl0_inv
	v_cmp_eq_u32_e32 vcc_lo, 0, v2
	s_and_b32 s20, vcc_lo, exec_lo
	s_delay_alu instid0(SALU_CYCLE_1)
	s_or_b32 s18, s18, s20
	s_branch .LBB2_611
.LBB2_616:                              ;   in Loop: Header=BB2_569 Depth=2
	s_or_b32 exec_lo, exec_lo, s14
	s_and_saveexec_b32 s14, s15
	s_delay_alu instid0(SALU_CYCLE_1)
	s_xor_b32 s14, exec_lo, s14
	s_cbranch_execz .LBB2_618
; %bb.617:                              ;   in Loop: Header=BB2_569 Depth=2
	ds_store_b32 v0, v129
	s_cbranch_execnz .LBB2_1933
.LBB2_618:                              ;   in Loop: Header=BB2_569 Depth=2
	s_or_b32 exec_lo, exec_lo, s13
	;;#ASMSTART
	s_wakeup
	;;#ASMEND
.LBB2_619:                              ;   in Loop: Header=BB2_569 Depth=2
	s_or_b32 exec_lo, exec_lo, s10
.LBB2_620:                              ;   in Loop: Header=BB2_569 Depth=2
	s_and_not1_saveexec_b32 s3, s3
	s_cbranch_execz .LBB2_622
; %bb.621:                              ;   in Loop: Header=BB2_569 Depth=2
	s_waitcnt lgkmcnt(0)
	s_waitcnt_vscnt null, 0x0
	buffer_gl1_inv
	buffer_gl0_inv
	s_barrier
.LBB2_622:                              ;   in Loop: Header=BB2_569 Depth=2
	s_or_b32 exec_lo, exec_lo, s3
.LBB2_623:                              ;   in Loop: Header=BB2_569 Depth=2
	s_delay_alu instid0(SALU_CYCLE_1)
	s_or_b32 exec_lo, exec_lo, s5
	s_cbranch_execnz .LBB2_1551
; %bb.624:                              ;   in Loop: Header=BB2_569 Depth=2
	ds_load_b32 v8, v0
	v_and_b32_e32 v2, 0x4000, v30
	s_xor_b32 s3, s2, -1
	s_delay_alu instid0(VALU_DEP_1) | instskip(SKIP_1) | instid1(SALU_CYCLE_1)
	v_cmp_ne_u32_e32 vcc_lo, 0, v2
	s_and_b32 s3, s3, vcc_lo
	s_and_saveexec_b32 s5, s3
	s_cbranch_execz .LBB2_646
; %bb.625:                              ;   in Loop: Header=BB2_569 Depth=2
	s_and_saveexec_b32 s3, s4
	s_delay_alu instid0(SALU_CYCLE_1)
	s_xor_b32 s3, exec_lo, s3
	s_cbranch_execz .LBB2_643
; %bb.626:                              ;   in Loop: Header=BB2_569 Depth=2
	s_and_saveexec_b32 s10, s1
	s_cbranch_execz .LBB2_642
; %bb.627:                              ;   in Loop: Header=BB2_569 Depth=2
	s_mov_b32 s14, exec_lo
	s_mov_b32 s13, exec_lo
	v_mbcnt_lo_u32_b32 v2, s14, 0
	s_waitcnt lgkmcnt(0)
	s_waitcnt_vscnt null, 0x0
	buffer_gl1_inv
	buffer_gl0_inv
	v_cmpx_eq_u32_e32 0, v2
	s_cbranch_execz .LBB2_629
; %bb.628:                              ;   in Loop: Header=BB2_569 Depth=2
	s_bcnt1_i32_b32 s14, s14
	s_delay_alu instid0(SALU_CYCLE_1)
	v_mov_b32_e32 v2, s14
	ds_add_u64 v0, v[2:3]
	s_cbranch_execnz .LBB2_1719
.LBB2_629:                              ;   in Loop: Header=BB2_569 Depth=2
	s_or_b32 exec_lo, exec_lo, s13
	s_cbranch_execnz .LBB2_1689
; %bb.630:                              ;   in Loop: Header=BB2_569 Depth=2
	ds_load_b64 v[9:10], v0
	v_add_co_u32 v12, vcc_lo, v12, v96
	v_add_co_ci_u32_e32 v13, vcc_lo, 0, v13, vcc_lo
	s_mov_b32 s13, exec_lo
	s_waitcnt lgkmcnt(0)
	s_delay_alu instid0(VALU_DEP_1)
	v_cmpx_lt_u64_e64 v[9:10], v[12:13]
	s_cbranch_execz .LBB2_641
; %bb.631:                              ;   in Loop: Header=BB2_569 Depth=2
	s_mov_b32 s14, 0
	s_mov_b32 s17, 0
                                        ; implicit-def: $sgpr15
                                        ; implicit-def: $sgpr16
	s_branch .LBB2_633
.LBB2_632:                              ;   in Loop: Header=BB2_633 Depth=3
	s_or_b32 exec_lo, exec_lo, s20
	s_delay_alu instid0(SALU_CYCLE_1) | instskip(NEXT) | instid1(SALU_CYCLE_1)
	s_and_b32 s18, exec_lo, s19
	s_or_b32 s14, s18, s14
	s_and_not1_b32 s15, s15, exec_lo
	s_and_b32 s18, s16, exec_lo
	s_delay_alu instid0(SALU_CYCLE_1)
	s_or_b32 s15, s15, s18
	s_and_not1_b32 exec_lo, exec_lo, s14
	s_cbranch_execz .LBB2_639
.LBB2_633:                              ;   Parent Loop BB2_55 Depth=1
                                        ;     Parent Loop BB2_569 Depth=2
                                        ; =>    This Inner Loop Header: Depth=3
	s_add_i32 s17, s17, 1
                                        ; implicit-def: $sgpr19
	s_delay_alu instid0(SALU_CYCLE_1) | instskip(SKIP_1) | instid1(SALU_CYCLE_1)
	s_cmpk_lg_i32 s17, 0x2710
	s_cselect_b32 s18, -1, 0
	s_and_b32 vcc_lo, exec_lo, s18
	s_cbranch_vccz .LBB2_637
.LBB2_634:                              ;   in Loop: Header=BB2_633 Depth=3
	s_and_not1_b32 s16, s16, exec_lo
	s_and_b32 s20, s19, exec_lo
	s_mov_b32 s19, -1
	s_or_b32 s16, s16, s20
	s_and_saveexec_b32 s20, s18
	s_cbranch_execz .LBB2_632
; %bb.635:                              ;   in Loop: Header=BB2_633 Depth=3
	s_sleep 1
	s_cbranch_execnz .LBB2_1779
; %bb.636:                              ;   in Loop: Header=BB2_633 Depth=3
	ds_load_b64 v[9:10], v0
	s_and_not1_b32 s16, s16, exec_lo
	s_waitcnt lgkmcnt(0)
	v_cmp_ge_u64_e32 vcc_lo, v[9:10], v[12:13]
	s_or_not1_b32 s19, vcc_lo, exec_lo
	s_branch .LBB2_632
.LBB2_637:                              ;   in Loop: Header=BB2_633 Depth=3
	s_cbranch_execnz .LBB2_1795
; %bb.638:                              ;   in Loop: Header=BB2_633 Depth=3
	ds_load_b64 v[9:10], v0
	s_and_not1_b32 s18, s18, exec_lo
	s_mov_b32 s17, 0
	s_mov_b32 s19, -1
	s_waitcnt lgkmcnt(0)
	flat_load_b32 v2, v[9:10] glc
	s_waitcnt vmcnt(0) lgkmcnt(0)
	buffer_gl1_inv
	buffer_gl0_inv
	v_cmp_eq_u32_e32 vcc_lo, 0, v2
	s_and_b32 s20, vcc_lo, exec_lo
	s_delay_alu instid0(SALU_CYCLE_1)
	s_or_b32 s18, s18, s20
	s_branch .LBB2_634
.LBB2_639:                              ;   in Loop: Header=BB2_569 Depth=2
	s_or_b32 exec_lo, exec_lo, s14
	s_and_saveexec_b32 s14, s15
	s_delay_alu instid0(SALU_CYCLE_1)
	s_xor_b32 s14, exec_lo, s14
	s_cbranch_execz .LBB2_641
; %bb.640:                              ;   in Loop: Header=BB2_569 Depth=2
	ds_store_b32 v0, v129
	s_cbranch_execnz .LBB2_1957
.LBB2_641:                              ;   in Loop: Header=BB2_569 Depth=2
	s_or_b32 exec_lo, exec_lo, s13
	;;#ASMSTART
	s_wakeup
	;;#ASMEND
.LBB2_642:                              ;   in Loop: Header=BB2_569 Depth=2
	s_or_b32 exec_lo, exec_lo, s10
.LBB2_643:                              ;   in Loop: Header=BB2_569 Depth=2
	s_and_not1_saveexec_b32 s3, s3
	s_cbranch_execz .LBB2_645
; %bb.644:                              ;   in Loop: Header=BB2_569 Depth=2
	s_waitcnt lgkmcnt(0)
	s_waitcnt_vscnt null, 0x0
	buffer_gl1_inv
	buffer_gl0_inv
	s_barrier
.LBB2_645:                              ;   in Loop: Header=BB2_569 Depth=2
	s_or_b32 exec_lo, exec_lo, s3
.LBB2_646:                              ;   in Loop: Header=BB2_569 Depth=2
	s_delay_alu instid0(SALU_CYCLE_1)
	s_or_b32 exec_lo, exec_lo, s5
	s_cbranch_execnz .LBB2_1585
; %bb.647:                              ;   in Loop: Header=BB2_569 Depth=2
	ds_load_b64 v[9:10], v0
	v_mov_b32_e32 v53, 0
	s_waitcnt lgkmcnt(0)
	v_cmp_eq_u64_e32 vcc_lo, 0, v[9:10]
	s_or_b32 s3, vcc_lo, vcc_lo
	s_delay_alu instid0(SALU_CYCLE_1)
	s_and_b32 vcc_lo, exec_lo, s3
	s_cbranch_vccnz .LBB2_773
; %bb.648:                              ;   in Loop: Header=BB2_569 Depth=2
	v_cmp_eq_u32_e32 vcc_lo, 0, v8
	s_cbranch_execnz .LBB2_1645
; %bb.649:                              ;   in Loop: Header=BB2_569 Depth=2
	ds_load_b64 v[66:67], v0
	v_cndmask_b32_e32 v53, 0, v52, vcc_lo
	s_mov_b32 s3, -1
	s_delay_alu instid0(VALU_DEP_1)
	v_lshlrev_b32_e32 v55, 3, v53
	s_waitcnt lgkmcnt(0)
	v_cmp_ne_u64_e32 vcc_lo, 0, v[66:67]
	s_cbranch_vccz .LBB2_715
; %bb.650:                              ;   in Loop: Header=BB2_569 Depth=2
	s_and_saveexec_b32 s5, s12
	s_cbranch_execz .LBB2_652
; %bb.651:                              ;   in Loop: Header=BB2_569 Depth=2
	ds_load_b32 v2, v0 offset:720
	s_waitcnt lgkmcnt(0)
	v_and_b32_e32 v2, 15, v2
	s_delay_alu instid0(VALU_DEP_1)
	v_cmp_eq_u32_e32 vcc_lo, 0, v2
	s_or_not1_b32 s3, vcc_lo, exec_lo
.LBB2_652:                              ;   in Loop: Header=BB2_569 Depth=2
	s_or_b32 exec_lo, exec_lo, s5
	s_and_saveexec_b32 s5, s12
	s_cbranch_execz .LBB2_654
; %bb.653:                              ;   in Loop: Header=BB2_569 Depth=2
	ds_load_b32 v2, v0 offset:784
	s_waitcnt lgkmcnt(0)
	v_and_b32_e32 v2, 15, v2
	s_delay_alu instid0(VALU_DEP_1) | instskip(SKIP_3) | instid1(SALU_CYCLE_1)
	v_cmp_eq_u32_e32 vcc_lo, 0, v2
	s_and_b32 s10, s3, vcc_lo
	s_and_not1_b32 s3, s3, exec_lo
	s_and_b32 s10, s10, exec_lo
	s_or_b32 s3, s3, s10
.LBB2_654:                              ;   in Loop: Header=BB2_569 Depth=2
	s_or_b32 exec_lo, exec_lo, s5
	s_xor_b32 s3, s3, -1
	s_mov_b32 s21, -1
	v_cndmask_b32_e64 v2, 0, 1, s3
	;;#ASMSTART
	;;#ASMEND
	s_delay_alu instid0(VALU_DEP_1)
	v_cmp_ne_u32_e32 vcc_lo, 0, v2
	s_cbranch_vccz .LBB2_656
; %bb.655:                              ;   in Loop: Header=BB2_569 Depth=2
	v_alignbit_b32 v85, v66, v66, 1
	v_readlane_b32 s14, v42, 1
	v_readlane_b32 s15, v42, 2
	s_mov_b32 s21, 0
	s_mov_b32 s22, -1
	v_readfirstlane_b32 s3, v85
	s_delay_alu instid0(VALU_DEP_1) | instskip(NEXT) | instid1(SALU_CYCLE_1)
	s_and_b32 s20, s3, 0x7fffffff
	s_mov_b32 s14, s20
	s_delay_alu instid0(SALU_CYCLE_1)
	v_writelane_b32 v42, s14, 1
	v_writelane_b32 v42, s15, 2
	s_branch .LBB2_657
.LBB2_656:                              ;   in Loop: Header=BB2_569 Depth=2
	s_mov_b32 s22, 0
                                        ; implicit-def: $vgpr85
.LBB2_657:                              ;   in Loop: Header=BB2_569 Depth=2
	s_and_not1_b32 vcc_lo, exec_lo, s21
	s_cbranch_vccnz .LBB2_661
; %bb.658:                              ;   in Loop: Header=BB2_569 Depth=2
	v_alignbit_b32 v2, v66, v66, 1
	v_readlane_b32 s14, v42, 1
	v_mov_b32_e32 v67, -1
	v_readlane_b32 s15, v42, 2
	v_mov_b32_e32 v68, -1
	v_readfirstlane_b32 s3, v2
	v_readfirstlane_b32 s23, v2
	s_delay_alu instid0(VALU_DEP_2) | instskip(NEXT) | instid1(SALU_CYCLE_1)
	s_and_b32 s14, s3, 0x7fffffff
	v_writelane_b32 v42, s14, 1
	s_cmp_lt_i32 s14, 1
	v_writelane_b32 v42, s15, 2
	s_cbranch_scc1 .LBB2_664
; %bb.659:                              ;   in Loop: Header=BB2_569 Depth=2
	s_delay_alu instid0(VALU_DEP_1) | instskip(SKIP_1) | instid1(VALU_DEP_2)
	v_readlane_b32 s14, v42, 1
	v_readlane_b32 s15, v42, 2
	s_cmp_lg_u32 s14, 1
	s_cbranch_scc1 .LBB2_662
; %bb.660:                              ;   in Loop: Header=BB2_569 Depth=2
	v_readlane_b32 s14, v42, 5
	v_readlane_b32 s15, v42, 6
	s_mov_b64 s[20:21], 1
	s_delay_alu instid0(VALU_DEP_1) | instskip(SKIP_4) | instid1(VALU_DEP_2)
	s_mov_b32 s17, s15
	v_readlane_b32 s14, v42, 1
	v_readlane_b32 s15, v42, 2
	s_mov_b32 s13, s17
	v_writelane_b32 v42, s12, 5
	s_mov_b32 s16, s15
	s_delay_alu instid0(SALU_CYCLE_1)
	s_mov_b64 s[14:15], s[16:17]
	v_writelane_b32 v42, s13, 6
	s_branch .LBB2_663
.LBB2_661:                              ;   in Loop: Header=BB2_569 Depth=2
	v_dual_mov_b32 v84, s21 :: v_dual_mov_b32 v131, v98
	v_mov_b32_e32 v132, v55
	v_mov_b32_e32 v2, v97
	s_branch .LBB2_688
.LBB2_662:                              ;   in Loop: Header=BB2_569 Depth=2
	s_mov_b64 s[20:21], 3
	s_mov_b64 s[14:15], 0
.LBB2_663:                              ;   in Loop: Header=BB2_569 Depth=2
	s_delay_alu instid0(VALU_DEP_1) | instskip(SKIP_2) | instid1(VALU_DEP_1)
	v_readlane_b32 s16, v42, 1
	v_readlane_b32 s17, v42, 2
	s_or_b32 s5, s15, 2.0
	v_cmp_lt_u64_e64 s3, s[20:21], s[16:17]
	s_delay_alu instid0(VALU_DEP_1)
	s_and_b32 s3, s3, exec_lo
	s_cselect_b32 s3, s15, s5
	s_cselect_b32 s5, 0, s16
	s_cselect_b32 s10, 0, 0
	s_sub_u32 s18, s20, s5
	s_subb_u32 s19, s21, s10
	s_or_b32 s10, s3, 0x20000000
	s_lshl_b64 s[18:19], s[18:19], 1
	s_delay_alu instid0(SALU_CYCLE_1) | instskip(NEXT) | instid1(SALU_CYCLE_1)
	s_or_b32 s18, s18, 1
	v_cmp_lt_u64_e64 s5, s[18:19], s[16:17]
	s_delay_alu instid0(VALU_DEP_1)
	s_and_b32 s5, s5, exec_lo
	s_cselect_b32 s5, 0, s16
	s_cselect_b32 s3, s3, s10
	s_cselect_b32 s10, 0, 0
	s_sub_u32 s18, s18, s5
	s_subb_u32 s19, s19, s10
	s_or_b32 s10, s3, 0x10000000
	s_lshl_b64 s[18:19], s[18:19], 1
	s_delay_alu instid0(SALU_CYCLE_1) | instskip(NEXT) | instid1(SALU_CYCLE_1)
	s_or_b32 s18, s18, 1
	;; [unrolled: 12-line block ×30, first 2 shown]
	v_cmp_lt_u64_e64 s5, s[18:19], s[16:17]
	s_delay_alu instid0(VALU_DEP_1)
	s_and_b32 s5, s5, exec_lo
	s_cselect_b32 s5, s3, s10
	s_cselect_b32 s3, 0, s16
	s_cselect_b32 s10, 0, 0
	s_sub_u32 s18, s18, s3
	s_subb_u32 s19, s19, s10
	s_or_b32 s10, s14, 0x80000000
	s_lshl_b64 s[18:19], s[18:19], 1
	v_mov_b32_e32 v68, s5
	s_or_b32 s18, s18, 1
	s_delay_alu instid0(SALU_CYCLE_1) | instskip(NEXT) | instid1(VALU_DEP_1)
	v_cmp_lt_u64_e64 s3, s[18:19], s[16:17]
	s_and_b32 s3, s3, exec_lo
	s_cselect_b32 s3, s14, s10
	s_cselect_b32 s10, 0, s16
	s_cselect_b32 s13, 0, 0
	s_sub_u32 s14, s18, s10
	s_subb_u32 s15, s19, s13
	s_or_b32 s13, s3, 2.0
	s_lshl_b64 s[14:15], s[14:15], 1
	s_delay_alu instid0(SALU_CYCLE_1) | instskip(NEXT) | instid1(SALU_CYCLE_1)
	s_or_b32 s14, s14, 1
	v_cmp_lt_u64_e64 s10, s[14:15], s[16:17]
	s_delay_alu instid0(VALU_DEP_1)
	s_and_b32 s10, s10, exec_lo
	s_cselect_b32 s10, 0, s16
	s_cselect_b32 s3, s3, s13
	s_cselect_b32 s13, 0, 0
	s_sub_u32 s14, s14, s10
	s_subb_u32 s15, s15, s13
	s_or_b32 s13, s3, 0x20000000
	s_lshl_b64 s[14:15], s[14:15], 1
	s_delay_alu instid0(SALU_CYCLE_1) | instskip(NEXT) | instid1(SALU_CYCLE_1)
	s_or_b32 s14, s14, 1
	v_cmp_lt_u64_e64 s10, s[14:15], s[16:17]
	s_delay_alu instid0(VALU_DEP_1)
	s_and_b32 s10, s10, exec_lo
	s_cselect_b32 s10, 0, s16
	s_cselect_b32 s3, s3, s13
	s_cselect_b32 s13, 0, 0
	s_sub_u32 s14, s14, s10
	s_subb_u32 s15, s15, s13
	s_or_b32 s13, s3, 0x10000000
	;; [unrolled: 12-line block ×29, first 2 shown]
	s_lshl_b64 s[14:15], s[14:15], 1
	s_delay_alu instid0(SALU_CYCLE_1) | instskip(NEXT) | instid1(SALU_CYCLE_1)
	s_or_b32 s14, s14, 1
	v_cmp_lt_u64_e64 s10, s[14:15], s[16:17]
	s_delay_alu instid0(VALU_DEP_1)
	s_and_b32 s10, s10, exec_lo
	s_cselect_b32 s10, 0, s16
	s_cselect_b32 s3, s3, s13
	;; [unrolled: 1-line block ×3, first 2 shown]
	s_sub_u32 s14, s14, s10
	s_subb_u32 s15, s15, s13
	s_delay_alu instid0(SALU_CYCLE_1) | instskip(NEXT) | instid1(SALU_CYCLE_1)
	s_lshl_b64 s[14:15], s[14:15], 1
	s_or_b32 s14, s14, 1
	s_delay_alu instid0(SALU_CYCLE_1) | instskip(NEXT) | instid1(VALU_DEP_1)
	v_cmp_ge_u64_e64 s10, s[14:15], s[16:17]
	v_cndmask_b32_e64 v2, 0, 1, s10
	s_delay_alu instid0(VALU_DEP_1)
	v_or_b32_e32 v67, s3, v2
.LBB2_664:                              ;   in Loop: Header=BB2_569 Depth=2
	v_ashrrev_i32_e32 v2, 31, v55
	v_sub_nc_u32_e32 v131, v55, v0
	s_mov_b32 s5, exec_lo
	s_delay_alu instid0(VALU_DEP_2) | instskip(NEXT) | instid1(VALU_DEP_1)
	v_lshrrev_b32_e32 v2, 23, v2
	v_add_nc_u32_e32 v2, v55, v2
	s_delay_alu instid0(VALU_DEP_1) | instskip(SKIP_1) | instid1(VALU_DEP_2)
	v_and_b32_e32 v133, 0xfffffe00, v2
	v_ashrrev_i32_e32 v2, 9, v2
	v_sub_nc_u32_e32 v135, v55, v133
	s_delay_alu instid0(VALU_DEP_1) | instskip(NEXT) | instid1(VALU_DEP_1)
	v_cmp_lt_i32_e64 s13, 15, v135
	v_add_co_ci_u32_e64 v144, vcc_lo, v2, v119, s13
	v_cmpx_lt_i32_e32 15, v131
	s_cbranch_execz .LBB2_671
; %bb.665:                              ;   in Loop: Header=BB2_569 Depth=2
	s_cbranch_execnz .LBB2_1801
; %bb.666:                              ;   in Loop: Header=BB2_569 Depth=2
	ds_load_b128 v[8:11], v0
	s_cmp_lt_i32 s23, 0
	s_mov_b32 s10, 0
	s_cselect_b32 s16, -1, 0
	s_waitcnt lgkmcnt(0)
	v_add_co_u32 v69, vcc_lo, v8, v0
	v_add_co_ci_u32_e32 v70, vcc_lo, v9, v128, vcc_lo
	v_add_co_u32 v80, vcc_lo, v10, v0
	v_add_co_ci_u32_e32 v81, vcc_lo, v11, v128, vcc_lo
	s_delay_alu instid0(VALU_DEP_3) | instskip(NEXT) | instid1(VALU_DEP_2)
	v_dual_mov_b32 v83, v70 :: v_dual_mov_b32 v82, v69
	v_dual_mov_b32 v85, v81 :: v_dual_mov_b32 v84, v80
.LBB2_667:                              ;   Parent Loop BB2_55 Depth=1
                                        ;     Parent Loop BB2_569 Depth=2
                                        ; =>    This Loop Header: Depth=3
                                        ;         Child Loop BB2_668 Depth 4
	global_load_b128 v[8:11], v[82:83], off slc dlc
	global_load_b128 v[145:148], v[84:85], off slc dlc
	v_mov_b32_e32 v150, v3
	v_readlane_b32 s18, v42, 1
	v_readlane_b32 s19, v42, 2
	s_mov_b32 s3, -1
	s_waitcnt vmcnt(0)
	v_add_co_u32 v8, vcc_lo, v145, v8
	v_add_co_ci_u32_e32 v9, vcc_lo, v146, v9, vcc_lo
	s_delay_alu instid0(VALU_DEP_2) | instskip(NEXT) | instid1(VALU_DEP_2)
	v_sub_co_u32 v2, s14, 0, v8
	v_cmp_gt_i64_e32 vcc_lo, 0, v[8:9]
	v_sub_co_ci_u32_e64 v132, s14, 0, v9, s14
	s_and_b32 vcc_lo, s16, vcc_lo
	s_delay_alu instid0(VALU_DEP_3) | instskip(SKIP_1) | instid1(VALU_DEP_3)
	v_cndmask_b32_e32 v134, v8, v2, vcc_lo
	v_add_co_u32 v8, s14, v147, v10
	v_cndmask_b32_e32 v132, v9, v132, vcc_lo
	v_add_co_ci_u32_e64 v9, s14, v148, v11, s14
	s_delay_alu instid0(VALU_DEP_4) | instskip(NEXT) | instid1(VALU_DEP_4)
	v_mul_hi_u32 v2, v134, v67
	v_sub_co_u32 v145, s15, 0, v8
	s_delay_alu instid0(VALU_DEP_3) | instskip(SKIP_1) | instid1(VALU_DEP_4)
	v_cmp_gt_i64_e64 s14, 0, v[8:9]
	v_mov_b32_e32 v148, v3
	v_mad_u64_u32 v[10:11], null, v132, v67, v[2:3]
	v_sub_co_ci_u32_e64 v2, s15, 0, v9, s15
	s_delay_alu instid0(VALU_DEP_4) | instskip(NEXT) | instid1(SALU_CYCLE_1)
	s_and_b32 s14, s16, s14
	v_cndmask_b32_e64 v160, v8, v145, s14
	s_delay_alu instid0(VALU_DEP_2) | instskip(NEXT) | instid1(VALU_DEP_4)
	v_cndmask_b32_e64 v151, v9, v2, s14
	v_dual_mov_b32 v2, v10 :: v_dual_mov_b32 v147, v11
	s_delay_alu instid0(VALU_DEP_1) | instskip(NEXT) | instid1(VALU_DEP_4)
	v_mad_u64_u32 v[8:9], null, v134, v68, v[2:3]
	v_mul_hi_u32 v2, v160, v67
	s_delay_alu instid0(VALU_DEP_1) | instskip(NEXT) | instid1(VALU_DEP_1)
	v_mad_u64_u32 v[145:146], null, v151, v67, v[2:3]
	v_dual_mov_b32 v2, v145 :: v_dual_mov_b32 v149, v146
	v_mad_u64_u32 v[145:146], null, v132, v68, v[147:148]
	s_delay_alu instid0(VALU_DEP_2) | instskip(SKIP_1) | instid1(VALU_DEP_4)
	v_mad_u64_u32 v[10:11], null, v160, v68, v[2:3]
	v_mov_b32_e32 v2, v9
	v_mad_u64_u32 v[8:9], null, v151, v68, v[149:150]
	s_delay_alu instid0(VALU_DEP_2) | instskip(NEXT) | instid1(VALU_DEP_4)
	v_add_co_u32 v148, s15, v145, v2
	v_mov_b32_e32 v10, v11
	v_add_co_ci_u32_e64 v149, s15, 0, v146, s15
	s_delay_alu instid0(VALU_DEP_2) | instskip(NEXT) | instid1(VALU_DEP_4)
	v_add_co_u32 v150, s15, v8, v10
	v_mad_u64_u32 v[10:11], null, v148, s18, 0
	v_add_co_ci_u32_e64 v161, s15, 0, v9, s15
	s_delay_alu instid0(VALU_DEP_3) | instskip(NEXT) | instid1(VALU_DEP_3)
	v_mad_u64_u32 v[8:9], null, v150, s18, 0
	v_mov_b32_e32 v2, v11
	s_delay_alu instid0(VALU_DEP_1) | instskip(NEXT) | instid1(VALU_DEP_3)
	v_mad_u64_u32 v[145:146], null, v149, s18, v[2:3]
	v_mad_u64_u32 v[146:147], null, v161, s18, v[9:10]
	v_sub_co_u32 v9, s15, v134, v10
	s_delay_alu instid0(VALU_DEP_2) | instskip(NEXT) | instid1(VALU_DEP_1)
	v_dual_mov_b32 v2, v145 :: v_dual_mov_b32 v11, v146
	v_sub_co_ci_u32_e64 v10, s15, v132, v2, s15
	v_sub_co_u32 v145, s15, v160, v8
	s_delay_alu instid0(VALU_DEP_1) | instskip(NEXT) | instid1(VALU_DEP_3)
	v_sub_co_ci_u32_e64 v146, s15, v151, v11, s15
	v_cmp_le_u64_e64 s15, s[18:19], v[9:10]
	s_delay_alu instid0(VALU_DEP_1) | instskip(NEXT) | instid1(VALU_DEP_3)
	v_cndmask_b32_e64 v2, 0, 1, s15
	v_cmp_le_u64_e64 s15, s[18:19], v[145:146]
	s_delay_alu instid0(VALU_DEP_1) | instskip(NEXT) | instid1(VALU_DEP_3)
	v_cndmask_b32_e64 v8, 0, 1, s15
	v_add_co_u32 v2, s15, v148, v2
	s_delay_alu instid0(VALU_DEP_1) | instskip(NEXT) | instid1(VALU_DEP_3)
	v_add_co_ci_u32_e64 v9, s15, 0, v149, s15
	v_add_co_u32 v10, s15, v150, v8
	s_delay_alu instid0(VALU_DEP_1) | instskip(NEXT) | instid1(VALU_DEP_4)
	v_add_co_ci_u32_e64 v11, s15, 0, v161, s15
	v_sub_co_u32 v8, s15, 0, v2
	s_delay_alu instid0(VALU_DEP_1) | instskip(NEXT) | instid1(VALU_DEP_4)
	v_sub_co_ci_u32_e64 v132, s15, 0, v9, s15
	v_sub_co_u32 v134, s15, 0, v10
	s_delay_alu instid0(VALU_DEP_1) | instskip(NEXT) | instid1(VALU_DEP_3)
	v_sub_co_ci_u32_e64 v145, s15, 0, v11, s15
	v_cndmask_b32_e32 v9, v9, v132, vcc_lo
	v_cndmask_b32_e32 v8, v2, v8, vcc_lo
	s_delay_alu instid0(VALU_DEP_4) | instskip(NEXT) | instid1(VALU_DEP_4)
	v_cndmask_b32_e64 v10, v10, v134, s14
	v_cndmask_b32_e64 v11, v11, v145, s14
	s_mov_b64 s[14:15], 0
.LBB2_668:                              ;   Parent Loop BB2_55 Depth=1
                                        ;     Parent Loop BB2_569 Depth=2
                                        ;       Parent Loop BB2_667 Depth=3
                                        ; =>      This Inner Loop Header: Depth=4
	s_delay_alu instid0(SALU_CYCLE_1)
	s_cmp_eq_u32 s14, 0
	v_cndmask_b32_e64 v2, 0, 1, s3
	s_cselect_b32 vcc_lo, -1, 0
	s_cmp_eq_u32 s14, 1
	s_mov_b32 s3, 0
	s_cselect_b32 s14, -1, 0
	s_delay_alu instid0(SALU_CYCLE_1) | instskip(SKIP_1) | instid1(VALU_DEP_2)
	v_cndmask_b32_e64 v145, v69, v80, s14
	v_cndmask_b32_e64 v146, v70, v81, s14
	v_add_co_u32 v132, s15, 0x200, v145
	s_delay_alu instid0(VALU_DEP_1) | instskip(SKIP_1) | instid1(VALU_DEP_3)
	v_add_co_ci_u32_e64 v134, s15, 0, v146, s15
	v_cmp_ne_u32_e64 s15, 1, v2
	v_cndmask_b32_e64 v80, v80, v132, s14
	v_cndmask_b32_e32 v69, v69, v132, vcc_lo
	s_delay_alu instid0(VALU_DEP_4)
	v_cndmask_b32_e64 v81, v81, v134, s14
	v_cndmask_b32_e32 v70, v70, v134, vcc_lo
	s_and_b32 vcc_lo, exec_lo, s15
	s_mov_b64 s[14:15], 1
	global_store_b128 v[145:146], v[8:11], off glc slc dlc
	s_cbranch_vccz .LBB2_668
; %bb.669:                              ;   in Loop: Header=BB2_667 Depth=3
	v_add_co_u32 v82, vcc_lo, v82, v114
	v_add_co_ci_u32_e32 v83, vcc_lo, v83, v115, vcc_lo
	v_add_co_u32 v84, vcc_lo, v84, v114
	v_sub_nc_u32_e32 v131, v131, v99
	v_add_co_ci_u32_e32 v85, vcc_lo, v85, v115, vcc_lo
	v_add_co_u32 v69, vcc_lo, v69, v100
	v_add_co_ci_u32_e32 v70, vcc_lo, v70, v112, vcc_lo
	s_delay_alu instid0(VALU_DEP_4) | instskip(SKIP_1) | instid1(VALU_DEP_1)
	v_cmp_gt_i32_e32 vcc_lo, 16, v131
	v_add_co_u32 v80, s14, v80, v100
	v_add_co_ci_u32_e64 v81, s14, v81, v112, s14
	v_sub_nc_u32_e32 v144, v144, v96
	s_or_b32 s10, vcc_lo, s10
	s_delay_alu instid0(SALU_CYCLE_1)
	s_and_not1_b32 exec_lo, exec_lo, s10
	s_cbranch_execnz .LBB2_667
; %bb.670:                              ;   in Loop: Header=BB2_569 Depth=2
	s_or_b32 exec_lo, exec_lo, s10
.LBB2_671:                              ;   in Loop: Header=BB2_569 Depth=2
	s_delay_alu instid0(SALU_CYCLE_1) | instskip(SKIP_2) | instid1(VALU_DEP_1)
	s_or_b32 exec_lo, exec_lo, s5
	v_and_b32_e32 v8, 8, v55
	s_mov_b32 s16, exec_lo
                                        ; implicit-def: $vgpr132
                                        ; implicit-def: $vgpr84
                                        ; implicit-def: $vgpr131
                                        ; implicit-def: $sgpr20_sgpr21
                                        ; implicit-def: $vgpr2
	v_cndmask_b32_e64 v134, v135, v8, s13
	s_delay_alu instid0(VALU_DEP_1)
	v_cmpx_ne_u32_e32 0, v134
	s_cbranch_execz .LBB2_687
; %bb.672:                              ;   in Loop: Header=BB2_569 Depth=2
	v_readlane_b32 s14, v42, 1
	v_mov_b32_e32 v67, -1
	v_mov_b32_e32 v68, -1
	v_readlane_b32 s15, v42, 2
	s_delay_alu instid0(VALU_DEP_4)
	s_cmp_lt_i32 s14, 1
	s_cbranch_scc1 .LBB2_677
; %bb.673:                              ;   in Loop: Header=BB2_569 Depth=2
	v_readlane_b32 s14, v42, 1
	v_readlane_b32 s15, v42, 2
	s_delay_alu instid0(VALU_DEP_2)
	s_cmp_lg_u32 s14, 1
	s_cbranch_scc1 .LBB2_675
; %bb.674:                              ;   in Loop: Header=BB2_569 Depth=2
	v_readlane_b32 s14, v42, 5
	v_readlane_b32 s15, v42, 6
	s_mov_b64 s[20:21], 1
	s_delay_alu instid0(VALU_DEP_1) | instskip(SKIP_2) | instid1(VALU_DEP_1)
	s_mov_b32 s19, s15
	v_readlane_b32 s14, v42, 1
	v_readlane_b32 s15, v42, 2
	s_mov_b32 s18, s15
	s_mov_b32 s15, s19
	s_delay_alu instid0(VALU_DEP_2)
	v_writelane_b32 v42, s14, 5
	v_writelane_b32 v42, s15, 6
	s_mov_b64 s[14:15], s[18:19]
	s_branch .LBB2_676
.LBB2_675:                              ;   in Loop: Header=BB2_569 Depth=2
	s_mov_b64 s[20:21], 3
	s_mov_b64 s[14:15], 0
.LBB2_676:                              ;   in Loop: Header=BB2_569 Depth=2
	s_delay_alu instid0(VALU_DEP_1) | instskip(SKIP_2) | instid1(VALU_DEP_1)
	v_readlane_b32 s18, v42, 1
	v_readlane_b32 s19, v42, 2
	s_or_b32 s5, s15, 2.0
	v_cmp_lt_u64_e64 s3, s[20:21], s[18:19]
	s_delay_alu instid0(VALU_DEP_1)
	s_and_b32 s3, s3, exec_lo
	s_cselect_b32 s3, s15, s5
	s_cselect_b32 s5, 0, s18
	s_cselect_b32 s10, 0, 0
	s_sub_u32 s20, s20, s5
	s_subb_u32 s21, s21, s10
	s_or_b32 s10, s3, 0x20000000
	s_lshl_b64 s[20:21], s[20:21], 1
	s_delay_alu instid0(SALU_CYCLE_1) | instskip(NEXT) | instid1(SALU_CYCLE_1)
	s_or_b32 s20, s20, 1
	v_cmp_lt_u64_e64 s5, s[20:21], s[18:19]
	s_delay_alu instid0(VALU_DEP_1)
	s_and_b32 s5, s5, exec_lo
	s_cselect_b32 s5, 0, s18
	s_cselect_b32 s3, s3, s10
	s_cselect_b32 s10, 0, 0
	s_sub_u32 s20, s20, s5
	s_subb_u32 s21, s21, s10
	s_or_b32 s10, s3, 0x10000000
	s_lshl_b64 s[20:21], s[20:21], 1
	s_delay_alu instid0(SALU_CYCLE_1) | instskip(NEXT) | instid1(SALU_CYCLE_1)
	s_or_b32 s20, s20, 1
	;; [unrolled: 12-line block ×30, first 2 shown]
	v_cmp_lt_u64_e64 s5, s[20:21], s[18:19]
	s_delay_alu instid0(VALU_DEP_1)
	s_and_b32 s5, s5, exec_lo
	s_cselect_b32 s5, s3, s10
	s_cselect_b32 s3, 0, s18
	;; [unrolled: 1-line block ×3, first 2 shown]
	s_sub_u32 s20, s20, s3
	s_subb_u32 s21, s21, s10
	s_or_b32 s10, s14, 0x80000000
	s_lshl_b64 s[20:21], s[20:21], 1
	v_mov_b32_e32 v68, s5
	s_or_b32 s20, s20, 1
	s_delay_alu instid0(SALU_CYCLE_1) | instskip(NEXT) | instid1(VALU_DEP_1)
	v_cmp_lt_u64_e64 s3, s[20:21], s[18:19]
	s_and_b32 s3, s3, exec_lo
	s_cselect_b32 s3, s14, s10
	s_cselect_b32 s10, 0, s18
	s_cselect_b32 s15, 0, 0
	s_sub_u32 s14, s20, s10
	s_subb_u32 s15, s21, s15
	s_or_b32 s17, s3, 2.0
	s_lshl_b64 s[14:15], s[14:15], 1
	s_delay_alu instid0(SALU_CYCLE_1) | instskip(NEXT) | instid1(SALU_CYCLE_1)
	s_or_b32 s14, s14, 1
	v_cmp_lt_u64_e64 s10, s[14:15], s[18:19]
	s_delay_alu instid0(VALU_DEP_1)
	s_and_b32 s10, s10, exec_lo
	s_cselect_b32 s10, 0, s18
	s_cselect_b32 s3, s3, s17
	s_cselect_b32 s17, 0, 0
	s_sub_u32 s14, s14, s10
	s_subb_u32 s15, s15, s17
	s_or_b32 s17, s3, 0x20000000
	s_lshl_b64 s[14:15], s[14:15], 1
	s_delay_alu instid0(SALU_CYCLE_1) | instskip(NEXT) | instid1(SALU_CYCLE_1)
	s_or_b32 s14, s14, 1
	v_cmp_lt_u64_e64 s10, s[14:15], s[18:19]
	s_delay_alu instid0(VALU_DEP_1)
	s_and_b32 s10, s10, exec_lo
	s_cselect_b32 s10, 0, s18
	s_cselect_b32 s3, s3, s17
	s_cselect_b32 s17, 0, 0
	s_sub_u32 s14, s14, s10
	s_subb_u32 s15, s15, s17
	s_or_b32 s17, s3, 0x10000000
	;; [unrolled: 12-line block ×29, first 2 shown]
	s_lshl_b64 s[14:15], s[14:15], 1
	s_delay_alu instid0(SALU_CYCLE_1) | instskip(NEXT) | instid1(SALU_CYCLE_1)
	s_or_b32 s14, s14, 1
	v_cmp_lt_u64_e64 s10, s[14:15], s[18:19]
	s_delay_alu instid0(VALU_DEP_1)
	s_and_b32 s10, s10, exec_lo
	s_cselect_b32 s10, 0, s18
	s_cselect_b32 s3, s3, s17
	;; [unrolled: 1-line block ×3, first 2 shown]
	s_sub_u32 s14, s14, s10
	s_subb_u32 s15, s15, s17
	s_delay_alu instid0(SALU_CYCLE_1) | instskip(NEXT) | instid1(SALU_CYCLE_1)
	s_lshl_b64 s[14:15], s[14:15], 1
	s_or_b32 s14, s14, 1
	s_delay_alu instid0(SALU_CYCLE_1) | instskip(NEXT) | instid1(VALU_DEP_1)
	v_cmp_ge_u64_e64 s10, s[14:15], s[18:19]
	v_cndmask_b32_e64 v2, 0, 1, s10
	s_delay_alu instid0(VALU_DEP_1)
	v_or_b32_e32 v67, s3, v2
.LBB2_677:                              ;   in Loop: Header=BB2_569 Depth=2
	v_cmp_lt_i32_e32 vcc_lo, 0, v144
	v_ashrrev_i32_e32 v10, 31, v134
	v_sub_nc_u32_e32 v8, v135, v8
	s_mov_b32 s5, exec_lo
	v_cndmask_b32_e32 v2, 0, v96, vcc_lo
	s_delay_alu instid0(VALU_DEP_3) | instskip(NEXT) | instid1(VALU_DEP_3)
	v_lshrrev_b32_e32 v10, 23, v10
	v_cndmask_b32_e64 v8, 0, v8, s13
	s_delay_alu instid0(VALU_DEP_3) | instskip(NEXT) | instid1(VALU_DEP_3)
	v_sub_nc_u32_e32 v2, v2, v144
	v_add_nc_u32_e32 v10, v134, v10
	s_delay_alu instid0(VALU_DEP_3) | instskip(NEXT) | instid1(VALU_DEP_3)
	v_add_nc_u32_e32 v133, v8, v133
	v_lshl_add_u32 v2, v2, 5, v98
	s_delay_alu instid0(VALU_DEP_3) | instskip(SKIP_1) | instid1(VALU_DEP_3)
	v_and_b32_e32 v144, 0xfffffe00, v10
	v_ashrrev_i32_e32 v10, 9, v10
	v_ashrrev_i32_e32 v9, 31, v2
	s_delay_alu instid0(VALU_DEP_3) | instskip(NEXT) | instid1(VALU_DEP_2)
	v_sub_nc_u32_e32 v135, v134, v144
	v_lshrrev_b32_e32 v9, 27, v9
	s_delay_alu instid0(VALU_DEP_2) | instskip(NEXT) | instid1(VALU_DEP_2)
	v_cmp_lt_i32_e64 s13, 15, v135
	v_add_nc_u32_e32 v9, v2, v9
	s_delay_alu instid0(VALU_DEP_2) | instskip(NEXT) | instid1(VALU_DEP_2)
	v_add_co_ci_u32_e64 v10, vcc_lo, 0, v10, s13
	v_and_b32_e32 v11, 0xffffffe0, v9
	v_ashrrev_i32_e32 v9, 5, v9
	s_delay_alu instid0(VALU_DEP_2) | instskip(NEXT) | instid1(VALU_DEP_2)
	v_sub_nc_u32_e32 v145, v2, v11
	v_sub_nc_u32_e32 v146, v10, v9
	s_delay_alu instid0(VALU_DEP_2) | instskip(NEXT) | instid1(VALU_DEP_1)
	v_lshlrev_b32_e32 v2, 4, v145
	v_lshl_add_u32 v2, v9, 9, v2
	s_delay_alu instid0(VALU_DEP_1) | instskip(NEXT) | instid1(VALU_DEP_1)
	v_sub_nc_u32_e32 v131, v134, v2
	v_cmpx_lt_i32_e32 15, v131
	s_cbranch_execz .LBB2_684
; %bb.678:                              ;   in Loop: Header=BB2_569 Depth=2
	s_cbranch_execnz .LBB2_1861
; %bb.679:                              ;   in Loop: Header=BB2_569 Depth=2
	ds_load_b128 v[8:11], v0
	v_add_nc_u32_e32 v2, v2, v133
	s_cmp_lt_i32 s23, 0
	s_mov_b32 s10, 0
	s_cselect_b32 s17, -1, 0
	s_delay_alu instid0(VALU_DEP_1) | instskip(SKIP_2) | instid1(VALU_DEP_2)
	v_ashrrev_i32_e32 v81, 31, v2
	s_waitcnt lgkmcnt(0)
	v_add_co_u32 v69, vcc_lo, v8, v2
	v_add_co_ci_u32_e32 v70, vcc_lo, v9, v81, vcc_lo
	v_add_co_u32 v80, vcc_lo, v10, v2
	v_add_co_ci_u32_e32 v81, vcc_lo, v11, v81, vcc_lo
	s_delay_alu instid0(VALU_DEP_3) | instskip(NEXT) | instid1(VALU_DEP_2)
	v_dual_mov_b32 v83, v70 :: v_dual_mov_b32 v82, v69
	v_dual_mov_b32 v85, v81 :: v_dual_mov_b32 v84, v80
.LBB2_680:                              ;   Parent Loop BB2_55 Depth=1
                                        ;     Parent Loop BB2_569 Depth=2
                                        ; =>    This Loop Header: Depth=3
                                        ;         Child Loop BB2_681 Depth 4
	global_load_b128 v[8:11], v[82:83], off slc dlc
	global_load_b128 v[147:150], v[84:85], off slc dlc
	v_readlane_b32 s18, v42, 1
	v_readlane_b32 s19, v42, 2
	s_mov_b32 s3, -1
	v_mov_b32_e32 v161, v3
	s_waitcnt vmcnt(0)
	v_add_co_u32 v8, vcc_lo, v147, v8
	v_add_co_ci_u32_e32 v9, vcc_lo, v148, v9, vcc_lo
	s_delay_alu instid0(VALU_DEP_2) | instskip(NEXT) | instid1(VALU_DEP_2)
	v_sub_co_u32 v2, s14, 0, v8
	v_cmp_gt_i64_e32 vcc_lo, 0, v[8:9]
	v_sub_co_ci_u32_e64 v132, s14, 0, v9, s14
	s_and_b32 vcc_lo, s17, vcc_lo
	s_delay_alu instid0(VALU_DEP_1) | instskip(SKIP_1) | instid1(VALU_DEP_1)
	v_dual_cndmask_b32 v132, v9, v132 :: v_dual_cndmask_b32 v151, v8, v2
	v_add_co_u32 v8, s14, v149, v10
	v_add_co_ci_u32_e64 v9, s14, v150, v11, s14
	s_delay_alu instid0(VALU_DEP_3) | instskip(NEXT) | instid1(VALU_DEP_3)
	v_mul_hi_u32 v2, v151, v67
	v_sub_co_u32 v147, s15, 0, v8
	s_delay_alu instid0(VALU_DEP_3) | instskip(SKIP_1) | instid1(VALU_DEP_4)
	v_cmp_gt_i64_e64 s14, 0, v[8:9]
	v_mov_b32_e32 v150, v3
	v_mad_u64_u32 v[10:11], null, v132, v67, v[2:3]
	v_sub_co_ci_u32_e64 v2, s15, 0, v9, s15
	s_delay_alu instid0(VALU_DEP_4) | instskip(NEXT) | instid1(SALU_CYCLE_1)
	s_and_b32 s14, s17, s14
	v_cndmask_b32_e64 v163, v8, v147, s14
	s_delay_alu instid0(VALU_DEP_2) | instskip(NEXT) | instid1(VALU_DEP_4)
	v_cndmask_b32_e64 v162, v9, v2, s14
	v_mov_b32_e32 v2, v10
	s_delay_alu instid0(VALU_DEP_1) | instskip(NEXT) | instid1(VALU_DEP_4)
	v_mad_u64_u32 v[8:9], null, v151, v68, v[2:3]
	v_mul_hi_u32 v2, v163, v67
	s_delay_alu instid0(VALU_DEP_1) | instskip(NEXT) | instid1(VALU_DEP_1)
	v_mad_u64_u32 v[147:148], null, v162, v67, v[2:3]
	v_dual_mov_b32 v149, v11 :: v_dual_mov_b32 v160, v148
	s_delay_alu instid0(VALU_DEP_2) | instskip(NEXT) | instid1(VALU_DEP_2)
	v_mov_b32_e32 v2, v147
	v_mad_u64_u32 v[147:148], null, v132, v68, v[149:150]
	s_delay_alu instid0(VALU_DEP_2) | instskip(SKIP_2) | instid1(VALU_DEP_2)
	v_mad_u64_u32 v[10:11], null, v163, v68, v[2:3]
	v_mov_b32_e32 v2, v9
	v_mad_u64_u32 v[8:9], null, v162, v68, v[160:161]
	v_add_co_u32 v150, s15, v147, v2
	s_delay_alu instid0(VALU_DEP_4) | instskip(SKIP_1) | instid1(VALU_DEP_2)
	v_mov_b32_e32 v10, v11
	v_add_co_ci_u32_e64 v160, s15, 0, v148, s15
	v_add_co_u32 v161, s15, v8, v10
	s_delay_alu instid0(VALU_DEP_4) | instskip(SKIP_1) | instid1(VALU_DEP_3)
	v_mad_u64_u32 v[10:11], null, v150, s18, 0
	v_add_co_ci_u32_e64 v164, s15, 0, v9, s15
	v_mad_u64_u32 v[8:9], null, v161, s18, 0
	s_delay_alu instid0(VALU_DEP_3) | instskip(NEXT) | instid1(VALU_DEP_1)
	v_mov_b32_e32 v2, v11
	v_mad_u64_u32 v[147:148], null, v160, s18, v[2:3]
	s_delay_alu instid0(VALU_DEP_3) | instskip(SKIP_1) | instid1(VALU_DEP_2)
	v_mad_u64_u32 v[148:149], null, v164, s18, v[9:10]
	v_sub_co_u32 v9, s15, v151, v10
	v_dual_mov_b32 v2, v147 :: v_dual_mov_b32 v11, v148
	s_delay_alu instid0(VALU_DEP_1) | instskip(SKIP_1) | instid1(VALU_DEP_1)
	v_sub_co_ci_u32_e64 v10, s15, v132, v2, s15
	v_sub_co_u32 v147, s15, v163, v8
	v_sub_co_ci_u32_e64 v148, s15, v162, v11, s15
	s_delay_alu instid0(VALU_DEP_3) | instskip(NEXT) | instid1(VALU_DEP_1)
	v_cmp_le_u64_e64 s15, s[18:19], v[9:10]
	v_cndmask_b32_e64 v2, 0, 1, s15
	s_delay_alu instid0(VALU_DEP_3) | instskip(NEXT) | instid1(VALU_DEP_1)
	v_cmp_le_u64_e64 s15, s[18:19], v[147:148]
	v_cndmask_b32_e64 v8, 0, 1, s15
	s_delay_alu instid0(VALU_DEP_3) | instskip(NEXT) | instid1(VALU_DEP_1)
	v_add_co_u32 v2, s15, v150, v2
	v_add_co_ci_u32_e64 v9, s15, 0, v160, s15
	s_delay_alu instid0(VALU_DEP_3) | instskip(NEXT) | instid1(VALU_DEP_1)
	v_add_co_u32 v10, s15, v161, v8
	v_add_co_ci_u32_e64 v11, s15, 0, v164, s15
	s_delay_alu instid0(VALU_DEP_4) | instskip(NEXT) | instid1(VALU_DEP_1)
	v_sub_co_u32 v8, s15, 0, v2
	v_sub_co_ci_u32_e64 v132, s15, 0, v9, s15
	s_delay_alu instid0(VALU_DEP_4) | instskip(NEXT) | instid1(VALU_DEP_1)
	v_sub_co_u32 v147, s15, 0, v10
	v_sub_co_ci_u32_e64 v148, s15, 0, v11, s15
	s_delay_alu instid0(VALU_DEP_3) | instskip(SKIP_1) | instid1(VALU_DEP_4)
	v_cndmask_b32_e32 v9, v9, v132, vcc_lo
	v_cndmask_b32_e32 v8, v2, v8, vcc_lo
	v_cndmask_b32_e64 v10, v10, v147, s14
	s_delay_alu instid0(VALU_DEP_4)
	v_cndmask_b32_e64 v11, v11, v148, s14
	s_mov_b64 s[14:15], 0
.LBB2_681:                              ;   Parent Loop BB2_55 Depth=1
                                        ;     Parent Loop BB2_569 Depth=2
                                        ;       Parent Loop BB2_680 Depth=3
                                        ; =>      This Inner Loop Header: Depth=4
	s_delay_alu instid0(SALU_CYCLE_1)
	s_cmp_eq_u32 s14, 0
	v_cndmask_b32_e64 v2, 0, 1, s3
	s_cselect_b32 vcc_lo, -1, 0
	s_cmp_eq_u32 s14, 1
	s_mov_b32 s3, 0
	s_cselect_b32 s14, -1, 0
	s_delay_alu instid0(SALU_CYCLE_1) | instskip(SKIP_1) | instid1(VALU_DEP_2)
	v_cndmask_b32_e64 v147, v69, v80, s14
	v_cndmask_b32_e64 v148, v70, v81, s14
	v_add_co_u32 v132, s15, 0x200, v147
	s_delay_alu instid0(VALU_DEP_1) | instskip(SKIP_1) | instid1(VALU_DEP_3)
	v_add_co_ci_u32_e64 v149, s15, 0, v148, s15
	v_cmp_ne_u32_e64 s15, 1, v2
	v_cndmask_b32_e64 v80, v80, v132, s14
	v_cndmask_b32_e32 v69, v69, v132, vcc_lo
	s_delay_alu instid0(VALU_DEP_4)
	v_cndmask_b32_e64 v81, v81, v149, s14
	v_cndmask_b32_e32 v70, v70, v149, vcc_lo
	s_and_b32 vcc_lo, exec_lo, s15
	s_mov_b64 s[14:15], 1
	global_store_b128 v[147:148], v[8:11], off glc slc dlc
	s_cbranch_vccz .LBB2_681
; %bb.682:                              ;   in Loop: Header=BB2_680 Depth=3
	v_add_co_u32 v82, vcc_lo, v82, v114
	v_add_co_ci_u32_e32 v83, vcc_lo, v83, v115, vcc_lo
	v_add_co_u32 v84, vcc_lo, v84, v114
	v_sub_nc_u32_e32 v131, v131, v99
	v_add_co_ci_u32_e32 v85, vcc_lo, v85, v115, vcc_lo
	v_add_co_u32 v69, vcc_lo, v69, v100
	v_add_co_ci_u32_e32 v70, vcc_lo, v70, v112, vcc_lo
	s_delay_alu instid0(VALU_DEP_4) | instskip(SKIP_1) | instid1(VALU_DEP_1)
	v_cmp_gt_i32_e32 vcc_lo, 16, v131
	v_add_co_u32 v80, s14, v80, v100
	v_add_co_ci_u32_e64 v81, s14, v81, v112, s14
	v_sub_nc_u32_e32 v146, v146, v96
	s_or_b32 s10, vcc_lo, s10
	s_delay_alu instid0(SALU_CYCLE_1)
	s_and_not1_b32 exec_lo, exec_lo, s10
	s_cbranch_execnz .LBB2_680
; %bb.683:                              ;   in Loop: Header=BB2_569 Depth=2
	s_or_b32 exec_lo, exec_lo, s10
.LBB2_684:                              ;   in Loop: Header=BB2_569 Depth=2
	s_delay_alu instid0(SALU_CYCLE_1) | instskip(SKIP_3) | instid1(VALU_DEP_1)
	s_or_b32 exec_lo, exec_lo, s5
	v_and_b32_e32 v8, 8, v134
	s_mov_b32 s3, s22
	s_mov_b32 s5, exec_lo
                                        ; implicit-def: $vgpr84
                                        ; implicit-def: $vgpr131
                                        ; implicit-def: $vgpr2
	v_cndmask_b32_e64 v132, v135, v8, s13
	s_delay_alu instid0(VALU_DEP_1)
	v_cmpx_ne_u32_e32 0, v132
	s_cbranch_execz .LBB2_686
; %bb.685:                              ;   in Loop: Header=BB2_569 Depth=2
	v_cmp_lt_i32_e32 vcc_lo, 0, v146
	v_sub_nc_u32_e32 v8, v135, v8
	s_or_b32 s3, s22, exec_lo
	v_cndmask_b32_e32 v2, 0, v96, vcc_lo
	s_delay_alu instid0(VALU_DEP_2) | instskip(NEXT) | instid1(VALU_DEP_2)
	v_cndmask_b32_e64 v8, 0, v8, s13
	v_sub_nc_u32_e32 v2, v2, v146
	s_delay_alu instid0(VALU_DEP_2) | instskip(NEXT) | instid1(VALU_DEP_2)
	v_add3_u32 v84, v144, v133, v8
	v_lshl_add_u32 v9, v2, 5, v145
	s_delay_alu instid0(VALU_DEP_1) | instskip(NEXT) | instid1(VALU_DEP_1)
	v_ashrrev_i32_e32 v2, 31, v9
	v_lshrrev_b32_e32 v2, 27, v2
	s_delay_alu instid0(VALU_DEP_1) | instskip(NEXT) | instid1(VALU_DEP_1)
	v_add_nc_u32_e32 v2, v9, v2
	v_and_b32_e32 v10, 0xffffffe0, v2
	v_ashrrev_i32_e32 v2, 5, v2
	s_delay_alu instid0(VALU_DEP_2)
	v_sub_nc_u32_e32 v131, v9, v10
.LBB2_686:                              ;   in Loop: Header=BB2_569 Depth=2
	s_or_b32 exec_lo, exec_lo, s5
	s_delay_alu instid0(SALU_CYCLE_1)
	s_and_not1_b32 s5, s22, exec_lo
	s_and_b32 s3, s3, exec_lo
	v_readlane_b32 s20, v42, 1
	s_or_b32 s22, s5, s3
	v_readlane_b32 s21, v42, 2
.LBB2_687:                              ;   in Loop: Header=BB2_569 Depth=2
	s_or_b32 exec_lo, exec_lo, s16
	v_mov_b32_e32 v85, s23
.LBB2_688:                              ;   in Loop: Header=BB2_569 Depth=2
	s_and_saveexec_b32 s30, s22
	s_cbranch_execz .LBB2_714
; %bb.689:                              ;   in Loop: Header=BB2_569 Depth=2
	v_readlane_b32 s14, v42, 1
	v_mov_b32_e32 v8, -1
	v_mov_b32_e32 v9, -1
	v_readlane_b32 s15, v42, 2
	s_delay_alu instid0(VALU_DEP_4)
	s_cmp_lt_i32 s14, 1
	s_cbranch_scc1 .LBB2_694
; %bb.690:                              ;   in Loop: Header=BB2_569 Depth=2
	v_readlane_b32 s14, v42, 1
	v_readlane_b32 s15, v42, 2
	s_delay_alu instid0(VALU_DEP_2)
	s_cmp_lg_u32 s14, 1
	s_cbranch_scc1 .LBB2_692
; %bb.691:                              ;   in Loop: Header=BB2_569 Depth=2
	v_readlane_b32 s14, v42, 5
	v_readlane_b32 s15, v42, 6
	s_mov_b64 s[22:23], 1
	s_delay_alu instid0(VALU_DEP_1) | instskip(SKIP_4) | instid1(VALU_DEP_2)
	s_mov_b32 s17, s15
	v_readlane_b32 s14, v42, 1
	v_readlane_b32 s15, v42, 2
	s_mov_b32 s13, s17
	v_writelane_b32 v42, s12, 5
	s_mov_b32 s16, s15
	s_delay_alu instid0(SALU_CYCLE_1)
	s_mov_b64 s[14:15], s[16:17]
	v_writelane_b32 v42, s13, 6
	s_branch .LBB2_693
.LBB2_692:                              ;   in Loop: Header=BB2_569 Depth=2
	s_mov_b64 s[22:23], 3
	s_mov_b64 s[14:15], 0
.LBB2_693:                              ;   in Loop: Header=BB2_569 Depth=2
	v_cmp_lt_u64_e64 s3, s[22:23], s[20:21]
	s_or_b32 s5, s15, 2.0
	s_delay_alu instid0(VALU_DEP_1)
	s_and_b32 s3, s3, exec_lo
	s_cselect_b32 s3, s15, s5
	s_cselect_b32 s5, 0, s20
	s_cselect_b32 s10, 0, s21
	s_sub_u32 s16, s22, s5
	s_subb_u32 s17, s23, s10
	s_or_b32 s10, s3, 0x20000000
	s_lshl_b64 s[16:17], s[16:17], 1
	s_delay_alu instid0(SALU_CYCLE_1) | instskip(NEXT) | instid1(SALU_CYCLE_1)
	s_or_b32 s16, s16, 1
	v_cmp_lt_u64_e64 s5, s[16:17], s[20:21]
	s_delay_alu instid0(VALU_DEP_1)
	s_and_b32 s5, s5, exec_lo
	s_cselect_b32 s5, 0, s20
	s_cselect_b32 s3, s3, s10
	s_cselect_b32 s10, 0, s21
	s_sub_u32 s16, s16, s5
	s_subb_u32 s17, s17, s10
	s_or_b32 s10, s3, 0x10000000
	s_lshl_b64 s[16:17], s[16:17], 1
	s_delay_alu instid0(SALU_CYCLE_1) | instskip(NEXT) | instid1(SALU_CYCLE_1)
	s_or_b32 s16, s16, 1
	v_cmp_lt_u64_e64 s5, s[16:17], s[20:21]
	;; [unrolled: 12-line block ×30, first 2 shown]
	s_delay_alu instid0(VALU_DEP_1)
	s_and_b32 s5, s5, exec_lo
	s_cselect_b32 s5, s3, s10
	s_cselect_b32 s3, 0, s20
	;; [unrolled: 1-line block ×3, first 2 shown]
	s_sub_u32 s16, s16, s3
	s_subb_u32 s17, s17, s10
	s_or_b32 s10, s14, 0x80000000
	s_lshl_b64 s[16:17], s[16:17], 1
	v_mov_b32_e32 v9, s5
	s_or_b32 s16, s16, 1
	s_delay_alu instid0(SALU_CYCLE_1) | instskip(NEXT) | instid1(VALU_DEP_1)
	v_cmp_lt_u64_e64 s3, s[16:17], s[20:21]
	s_and_b32 s3, s3, exec_lo
	s_cselect_b32 s3, s14, s10
	s_cselect_b32 s10, 0, s20
	;; [unrolled: 1-line block ×3, first 2 shown]
	s_sub_u32 s14, s16, s10
	s_subb_u32 s15, s17, s13
	s_or_b32 s13, s3, 2.0
	s_lshl_b64 s[14:15], s[14:15], 1
	s_delay_alu instid0(SALU_CYCLE_1) | instskip(NEXT) | instid1(SALU_CYCLE_1)
	s_or_b32 s14, s14, 1
	v_cmp_lt_u64_e64 s10, s[14:15], s[20:21]
	s_delay_alu instid0(VALU_DEP_1)
	s_and_b32 s10, s10, exec_lo
	s_cselect_b32 s10, 0, s20
	s_cselect_b32 s3, s3, s13
	s_cselect_b32 s13, 0, s21
	s_sub_u32 s14, s14, s10
	s_subb_u32 s15, s15, s13
	s_or_b32 s13, s3, 0x20000000
	s_lshl_b64 s[14:15], s[14:15], 1
	s_delay_alu instid0(SALU_CYCLE_1) | instskip(NEXT) | instid1(SALU_CYCLE_1)
	s_or_b32 s14, s14, 1
	v_cmp_lt_u64_e64 s10, s[14:15], s[20:21]
	s_delay_alu instid0(VALU_DEP_1)
	s_and_b32 s10, s10, exec_lo
	s_cselect_b32 s10, 0, s20
	s_cselect_b32 s3, s3, s13
	s_cselect_b32 s13, 0, s21
	s_sub_u32 s14, s14, s10
	s_subb_u32 s15, s15, s13
	s_or_b32 s13, s3, 0x10000000
	;; [unrolled: 12-line block ×29, first 2 shown]
	s_lshl_b64 s[14:15], s[14:15], 1
	s_delay_alu instid0(SALU_CYCLE_1) | instskip(NEXT) | instid1(SALU_CYCLE_1)
	s_or_b32 s14, s14, 1
	v_cmp_lt_u64_e64 s10, s[14:15], s[20:21]
	s_delay_alu instid0(VALU_DEP_1)
	s_and_b32 s10, s10, exec_lo
	s_cselect_b32 s10, 0, s20
	s_cselect_b32 s3, s3, s13
	;; [unrolled: 1-line block ×3, first 2 shown]
	s_sub_u32 s14, s14, s10
	s_subb_u32 s15, s15, s13
	s_delay_alu instid0(SALU_CYCLE_1) | instskip(NEXT) | instid1(SALU_CYCLE_1)
	s_lshl_b64 s[14:15], s[14:15], 1
	s_or_b32 s14, s14, 1
	s_delay_alu instid0(SALU_CYCLE_1) | instskip(NEXT) | instid1(VALU_DEP_1)
	v_cmp_ge_u64_e64 s10, s[14:15], s[20:21]
	v_cndmask_b32_e64 v8, 0, 1, s10
	s_delay_alu instid0(VALU_DEP_1)
	v_or_b32_e32 v8, s3, v8
.LBB2_694:                              ;   in Loop: Header=BB2_569 Depth=2
	v_ashrrev_i32_e32 v10, 31, v132
	v_lshlrev_b32_e32 v11, 3, v131
	s_mov_b32 s3, exec_lo
	s_delay_alu instid0(VALU_DEP_2) | instskip(NEXT) | instid1(VALU_DEP_1)
	v_lshrrev_b32_e32 v10, 24, v10
	v_add_nc_u32_e32 v10, v132, v10
	s_delay_alu instid0(VALU_DEP_1) | instskip(SKIP_2) | instid1(VALU_DEP_3)
	v_and_b32_e32 v133, 0xffffff00, v10
	v_ashrrev_i32_e32 v67, 8, v10
	v_lshl_add_u32 v10, v2, 8, v11
	v_sub_nc_u32_e32 v134, v132, v133
	s_delay_alu instid0(VALU_DEP_3) | instskip(NEXT) | instid1(VALU_DEP_3)
	v_sub_nc_u32_e32 v2, v67, v2
	v_sub_nc_u32_e32 v144, v132, v10
	s_delay_alu instid0(VALU_DEP_3) | instskip(NEXT) | instid1(VALU_DEP_1)
	v_cmp_lt_i32_e64 s13, 7, v134
	v_add_co_ci_u32_e64 v135, vcc_lo, 0, v2, s13
	s_delay_alu instid0(VALU_DEP_3)
	v_cmpx_lt_i32_e32 7, v144
	s_cbranch_execz .LBB2_701
; %bb.695:                              ;   in Loop: Header=BB2_569 Depth=2
	s_cbranch_execnz .LBB2_1813
; %bb.696:                              ;   in Loop: Header=BB2_569 Depth=2
	ds_load_b128 v[67:70], v0
	v_add_nc_u32_e32 v2, v10, v84
	v_cmp_gt_i32_e64 s14, 0, v85
	s_mov_b32 s5, 0
	s_delay_alu instid0(VALU_DEP_2) | instskip(SKIP_2) | instid1(VALU_DEP_2)
	v_ashrrev_i32_e32 v80, 31, v2
	s_waitcnt lgkmcnt(0)
	v_add_co_u32 v10, vcc_lo, v67, v2
	v_add_co_ci_u32_e32 v11, vcc_lo, v68, v80, vcc_lo
	v_add_co_u32 v67, vcc_lo, v69, v2
	v_add_co_ci_u32_e32 v68, vcc_lo, v70, v80, vcc_lo
	s_delay_alu instid0(VALU_DEP_3) | instskip(NEXT) | instid1(VALU_DEP_2)
	v_dual_mov_b32 v70, v11 :: v_dual_mov_b32 v69, v10
	v_dual_mov_b32 v81, v68 :: v_dual_mov_b32 v80, v67
.LBB2_697:                              ;   Parent Loop BB2_55 Depth=1
                                        ;     Parent Loop BB2_569 Depth=2
                                        ; =>    This Loop Header: Depth=3
                                        ;         Child Loop BB2_698 Depth 4
	flat_load_b64 v[82:83], v[69:70] slc dlc
	flat_load_b64 v[145:146], v[80:81] slc dlc
	s_mov_b64 s[22:23], 0
	s_mov_b32 s10, -1
	s_waitcnt vmcnt(0) lgkmcnt(0)
	v_add_co_u32 v82, vcc_lo, v145, v82
	v_add_co_ci_u32_e32 v83, vcc_lo, v146, v83, vcc_lo
	s_delay_alu instid0(VALU_DEP_2) | instskip(NEXT) | instid1(VALU_DEP_2)
	v_sub_co_u32 v2, s15, 0, v82
	v_cmp_gt_i64_e32 vcc_lo, 0, v[82:83]
	v_sub_co_ci_u32_e64 v145, s15, 0, v83, s15
	s_and_b32 vcc_lo, s14, vcc_lo
	v_mov_b32_e32 v146, v3
	s_delay_alu instid0(VALU_DEP_2) | instskip(NEXT) | instid1(VALU_DEP_1)
	v_dual_cndmask_b32 v149, v83, v145 :: v_dual_cndmask_b32 v150, v82, v2
	v_mul_hi_u32 v2, v150, v8
	s_delay_alu instid0(VALU_DEP_1) | instskip(NEXT) | instid1(VALU_DEP_1)
	v_mad_u64_u32 v[82:83], null, v149, v8, v[2:3]
	v_dual_mov_b32 v2, v82 :: v_dual_mov_b32 v145, v83
	s_delay_alu instid0(VALU_DEP_1) | instskip(NEXT) | instid1(VALU_DEP_2)
	v_mad_u64_u32 v[82:83], null, v150, v9, v[2:3]
	v_mad_u64_u32 v[147:148], null, v149, v9, v[145:146]
	s_delay_alu instid0(VALU_DEP_2) | instskip(NEXT) | instid1(VALU_DEP_1)
	v_mov_b32_e32 v2, v83
	v_add_co_u32 v2, s15, v147, v2
	s_delay_alu instid0(VALU_DEP_1) | instskip(NEXT) | instid1(VALU_DEP_2)
	v_add_co_ci_u32_e64 v145, s15, 0, v148, s15
	v_mul_lo_u32 v147, v2, s21
	v_mad_u64_u32 v[82:83], null, v2, s20, 0
	s_delay_alu instid0(VALU_DEP_3) | instskip(NEXT) | instid1(VALU_DEP_2)
	v_mul_lo_u32 v146, v145, s20
	v_sub_co_u32 v82, s15, v150, v82
	s_delay_alu instid0(VALU_DEP_2) | instskip(NEXT) | instid1(VALU_DEP_1)
	v_add3_u32 v83, v83, v147, v146
	v_sub_co_ci_u32_e64 v83, s15, v149, v83, s15
	s_delay_alu instid0(VALU_DEP_1) | instskip(NEXT) | instid1(VALU_DEP_1)
	v_cmp_le_u64_e64 s15, s[20:21], v[82:83]
	v_cndmask_b32_e64 v82, 0, 1, s15
	s_delay_alu instid0(VALU_DEP_1) | instskip(NEXT) | instid1(VALU_DEP_1)
	v_add_co_u32 v2, s15, v2, v82
	v_add_co_ci_u32_e64 v82, s15, 0, v145, s15
	s_delay_alu instid0(VALU_DEP_2) | instskip(NEXT) | instid1(VALU_DEP_1)
	v_sub_co_u32 v145, s15, 0, v2
	v_sub_co_ci_u32_e64 v83, s15, 0, v82, s15
	s_delay_alu instid0(VALU_DEP_1) | instskip(NEXT) | instid1(VALU_DEP_3)
	v_cndmask_b32_e32 v83, v82, v83, vcc_lo
	v_cndmask_b32_e32 v82, v2, v145, vcc_lo
.LBB2_698:                              ;   Parent Loop BB2_55 Depth=1
                                        ;     Parent Loop BB2_569 Depth=2
                                        ;       Parent Loop BB2_697 Depth=3
                                        ; =>      This Inner Loop Header: Depth=4
	s_cmp_eq_u32 s22, 0
	v_cndmask_b32_e64 v2, 0, 1, s10
	s_cselect_b32 vcc_lo, -1, 0
	s_cmp_eq_u32 s22, 1
	s_mov_b32 s10, 0
	s_cselect_b32 s15, -1, 0
	s_mov_b64 s[22:23], 1
	v_cndmask_b32_e64 v145, v10, v67, s15
	v_cndmask_b32_e64 v146, v11, v68, s15
	s_delay_alu instid0(VALU_DEP_2) | instskip(NEXT) | instid1(VALU_DEP_1)
	v_add_co_u32 v147, s16, 0x100, v145
	v_add_co_ci_u32_e64 v148, s16, 0, v146, s16
	v_cmp_ne_u32_e64 s16, 1, v2
	s_delay_alu instid0(VALU_DEP_3) | instskip(SKIP_1) | instid1(VALU_DEP_4)
	v_cndmask_b32_e64 v67, v67, v147, s15
	v_cndmask_b32_e32 v10, v10, v147, vcc_lo
	v_cndmask_b32_e64 v68, v68, v148, s15
	v_cndmask_b32_e32 v11, v11, v148, vcc_lo
	s_and_b32 vcc_lo, exec_lo, s16
	flat_store_b64 v[145:146], v[82:83] glc slc dlc
	s_cbranch_vccz .LBB2_698
; %bb.699:                              ;   in Loop: Header=BB2_697 Depth=3
	v_add_co_u32 v69, vcc_lo, v69, v117
	v_add_co_ci_u32_e32 v70, vcc_lo, v70, v118, vcc_lo
	v_add_co_u32 v80, vcc_lo, v80, v117
	v_sub_nc_u32_e32 v144, v144, v101
	v_add_co_ci_u32_e32 v81, vcc_lo, v81, v118, vcc_lo
	v_add_co_u32 v10, vcc_lo, v10, v113
	v_add_co_ci_u32_e32 v11, vcc_lo, v11, v116, vcc_lo
	s_delay_alu instid0(VALU_DEP_4) | instskip(SKIP_1) | instid1(VALU_DEP_1)
	v_cmp_gt_i32_e32 vcc_lo, 8, v144
	v_add_co_u32 v67, s15, v67, v113
	v_add_co_ci_u32_e64 v68, s15, v68, v116, s15
	v_sub_nc_u32_e32 v135, v135, v96
	s_or_b32 s5, vcc_lo, s5
	s_delay_alu instid0(SALU_CYCLE_1)
	s_and_not1_b32 exec_lo, exec_lo, s5
	s_cbranch_execnz .LBB2_697
; %bb.700:                              ;   in Loop: Header=BB2_569 Depth=2
	s_or_b32 exec_lo, exec_lo, s5
.LBB2_701:                              ;   in Loop: Header=BB2_569 Depth=2
	s_delay_alu instid0(SALU_CYCLE_1) | instskip(SKIP_2) | instid1(VALU_DEP_1)
	s_or_b32 exec_lo, exec_lo, s3
	v_and_b32_e32 v2, 7, v132
	s_mov_b32 s16, exec_lo
	v_cndmask_b32_e64 v10, v134, v2, s13
	s_delay_alu instid0(VALU_DEP_1)
	v_cmpx_ne_u32_e32 0, v10
	s_cbranch_execz .LBB2_713
; %bb.702:                              ;   in Loop: Header=BB2_569 Depth=2
	v_readlane_b32 s14, v42, 1
	v_mov_b32_e32 v8, -1
	v_mov_b32_e32 v9, -1
	v_readlane_b32 s15, v42, 2
	s_delay_alu instid0(VALU_DEP_4)
	s_cmp_lt_i32 s14, 1
	s_cbranch_scc1 .LBB2_707
; %bb.703:                              ;   in Loop: Header=BB2_569 Depth=2
	v_readlane_b32 s14, v42, 1
	v_readlane_b32 s15, v42, 2
	s_delay_alu instid0(VALU_DEP_2)
	s_cmp_lg_u32 s14, 1
	s_cbranch_scc1 .LBB2_705
; %bb.704:                              ;   in Loop: Header=BB2_569 Depth=2
	v_readlane_b32 s14, v42, 5
	v_readlane_b32 s15, v42, 6
	s_mov_b64 s[22:23], 1
	s_delay_alu instid0(VALU_DEP_1) | instskip(SKIP_2) | instid1(VALU_DEP_1)
	s_mov_b32 s19, s15
	v_readlane_b32 s14, v42, 1
	v_readlane_b32 s15, v42, 2
	s_mov_b32 s18, s15
	s_mov_b32 s15, s19
	s_delay_alu instid0(VALU_DEP_2)
	v_writelane_b32 v42, s14, 5
	v_writelane_b32 v42, s15, 6
	s_mov_b64 s[14:15], s[18:19]
	s_branch .LBB2_706
.LBB2_705:                              ;   in Loop: Header=BB2_569 Depth=2
	s_mov_b64 s[22:23], 3
	s_mov_b64 s[14:15], 0
.LBB2_706:                              ;   in Loop: Header=BB2_569 Depth=2
	v_cmp_lt_u64_e64 s3, s[22:23], s[20:21]
	s_or_b32 s5, s15, 2.0
	s_delay_alu instid0(VALU_DEP_1)
	s_and_b32 s3, s3, exec_lo
	s_cselect_b32 s3, s15, s5
	s_cselect_b32 s5, 0, s20
	s_cselect_b32 s10, 0, s21
	s_sub_u32 s18, s22, s5
	s_subb_u32 s19, s23, s10
	s_or_b32 s10, s3, 0x20000000
	s_lshl_b64 s[18:19], s[18:19], 1
	s_delay_alu instid0(SALU_CYCLE_1) | instskip(NEXT) | instid1(SALU_CYCLE_1)
	s_or_b32 s18, s18, 1
	v_cmp_lt_u64_e64 s5, s[18:19], s[20:21]
	s_delay_alu instid0(VALU_DEP_1)
	s_and_b32 s5, s5, exec_lo
	s_cselect_b32 s5, 0, s20
	s_cselect_b32 s3, s3, s10
	s_cselect_b32 s10, 0, s21
	s_sub_u32 s18, s18, s5
	s_subb_u32 s19, s19, s10
	s_or_b32 s10, s3, 0x10000000
	s_lshl_b64 s[18:19], s[18:19], 1
	s_delay_alu instid0(SALU_CYCLE_1) | instskip(NEXT) | instid1(SALU_CYCLE_1)
	s_or_b32 s18, s18, 1
	v_cmp_lt_u64_e64 s5, s[18:19], s[20:21]
	s_delay_alu instid0(VALU_DEP_1)
	s_and_b32 s5, s5, exec_lo
	s_cselect_b32 s5, 0, s20
	s_cselect_b32 s3, s3, s10
	s_cselect_b32 s10, 0, s21
	s_sub_u32 s18, s18, s5
	s_subb_u32 s19, s19, s10
	s_or_b32 s10, s3, 0x8000000
	s_lshl_b64 s[18:19], s[18:19], 1
	s_delay_alu instid0(SALU_CYCLE_1) | instskip(NEXT) | instid1(SALU_CYCLE_1)
	s_or_b32 s18, s18, 1
	v_cmp_lt_u64_e64 s5, s[18:19], s[20:21]
	s_delay_alu instid0(VALU_DEP_1)
	s_and_b32 s5, s5, exec_lo
	s_cselect_b32 s5, 0, s20
	s_cselect_b32 s3, s3, s10
	s_cselect_b32 s10, 0, s21
	s_sub_u32 s18, s18, s5
	s_subb_u32 s19, s19, s10
	s_or_b32 s10, s3, 0x4000000
	s_lshl_b64 s[18:19], s[18:19], 1
	s_delay_alu instid0(SALU_CYCLE_1) | instskip(NEXT) | instid1(SALU_CYCLE_1)
	s_or_b32 s18, s18, 1
	v_cmp_lt_u64_e64 s5, s[18:19], s[20:21]
	s_delay_alu instid0(VALU_DEP_1)
	s_and_b32 s5, s5, exec_lo
	s_cselect_b32 s5, 0, s20
	s_cselect_b32 s3, s3, s10
	s_cselect_b32 s10, 0, s21
	s_sub_u32 s18, s18, s5
	s_subb_u32 s19, s19, s10
	s_or_b32 s10, s3, 0x2000000
	s_lshl_b64 s[18:19], s[18:19], 1
	s_delay_alu instid0(SALU_CYCLE_1) | instskip(NEXT) | instid1(SALU_CYCLE_1)
	s_or_b32 s18, s18, 1
	v_cmp_lt_u64_e64 s5, s[18:19], s[20:21]
	s_delay_alu instid0(VALU_DEP_1)
	s_and_b32 s5, s5, exec_lo
	s_cselect_b32 s5, 0, s20
	s_cselect_b32 s3, s3, s10
	s_cselect_b32 s10, 0, s21
	s_sub_u32 s18, s18, s5
	s_subb_u32 s19, s19, s10
	s_or_b32 s10, s3, 0x1000000
	s_lshl_b64 s[18:19], s[18:19], 1
	s_delay_alu instid0(SALU_CYCLE_1) | instskip(NEXT) | instid1(SALU_CYCLE_1)
	s_or_b32 s18, s18, 1
	v_cmp_lt_u64_e64 s5, s[18:19], s[20:21]
	s_delay_alu instid0(VALU_DEP_1)
	s_and_b32 s5, s5, exec_lo
	s_cselect_b32 s5, 0, s20
	s_cselect_b32 s3, s3, s10
	s_cselect_b32 s10, 0, s21
	s_sub_u32 s18, s18, s5
	s_subb_u32 s19, s19, s10
	s_or_b32 s10, s3, 0x800000
	s_lshl_b64 s[18:19], s[18:19], 1
	s_delay_alu instid0(SALU_CYCLE_1) | instskip(NEXT) | instid1(SALU_CYCLE_1)
	s_or_b32 s18, s18, 1
	v_cmp_lt_u64_e64 s5, s[18:19], s[20:21]
	s_delay_alu instid0(VALU_DEP_1)
	s_and_b32 s5, s5, exec_lo
	s_cselect_b32 s5, 0, s20
	s_cselect_b32 s3, s3, s10
	s_cselect_b32 s10, 0, s21
	s_sub_u32 s18, s18, s5
	s_subb_u32 s19, s19, s10
	s_or_b32 s10, s3, 0x400000
	s_lshl_b64 s[18:19], s[18:19], 1
	s_delay_alu instid0(SALU_CYCLE_1) | instskip(NEXT) | instid1(SALU_CYCLE_1)
	s_or_b32 s18, s18, 1
	v_cmp_lt_u64_e64 s5, s[18:19], s[20:21]
	s_delay_alu instid0(VALU_DEP_1)
	s_and_b32 s5, s5, exec_lo
	s_cselect_b32 s5, 0, s20
	s_cselect_b32 s3, s3, s10
	s_cselect_b32 s10, 0, s21
	s_sub_u32 s18, s18, s5
	s_subb_u32 s19, s19, s10
	s_or_b32 s10, s3, 0x200000
	s_lshl_b64 s[18:19], s[18:19], 1
	s_delay_alu instid0(SALU_CYCLE_1) | instskip(NEXT) | instid1(SALU_CYCLE_1)
	s_or_b32 s18, s18, 1
	v_cmp_lt_u64_e64 s5, s[18:19], s[20:21]
	s_delay_alu instid0(VALU_DEP_1)
	s_and_b32 s5, s5, exec_lo
	s_cselect_b32 s5, 0, s20
	s_cselect_b32 s3, s3, s10
	s_cselect_b32 s10, 0, s21
	s_sub_u32 s18, s18, s5
	s_subb_u32 s19, s19, s10
	s_or_b32 s10, s3, 0x100000
	s_lshl_b64 s[18:19], s[18:19], 1
	s_delay_alu instid0(SALU_CYCLE_1) | instskip(NEXT) | instid1(SALU_CYCLE_1)
	s_or_b32 s18, s18, 1
	v_cmp_lt_u64_e64 s5, s[18:19], s[20:21]
	s_delay_alu instid0(VALU_DEP_1)
	s_and_b32 s5, s5, exec_lo
	s_cselect_b32 s5, 0, s20
	s_cselect_b32 s3, s3, s10
	s_cselect_b32 s10, 0, s21
	s_sub_u32 s18, s18, s5
	s_subb_u32 s19, s19, s10
	s_or_b32 s10, s3, 0x80000
	s_lshl_b64 s[18:19], s[18:19], 1
	s_delay_alu instid0(SALU_CYCLE_1) | instskip(NEXT) | instid1(SALU_CYCLE_1)
	s_or_b32 s18, s18, 1
	v_cmp_lt_u64_e64 s5, s[18:19], s[20:21]
	s_delay_alu instid0(VALU_DEP_1)
	s_and_b32 s5, s5, exec_lo
	s_cselect_b32 s5, 0, s20
	s_cselect_b32 s3, s3, s10
	s_cselect_b32 s10, 0, s21
	s_sub_u32 s18, s18, s5
	s_subb_u32 s19, s19, s10
	s_or_b32 s10, s3, 0x40000
	s_lshl_b64 s[18:19], s[18:19], 1
	s_delay_alu instid0(SALU_CYCLE_1) | instskip(NEXT) | instid1(SALU_CYCLE_1)
	s_or_b32 s18, s18, 1
	v_cmp_lt_u64_e64 s5, s[18:19], s[20:21]
	s_delay_alu instid0(VALU_DEP_1)
	s_and_b32 s5, s5, exec_lo
	s_cselect_b32 s5, 0, s20
	s_cselect_b32 s3, s3, s10
	s_cselect_b32 s10, 0, s21
	s_sub_u32 s18, s18, s5
	s_subb_u32 s19, s19, s10
	s_or_b32 s10, s3, 0x20000
	s_lshl_b64 s[18:19], s[18:19], 1
	s_delay_alu instid0(SALU_CYCLE_1) | instskip(NEXT) | instid1(SALU_CYCLE_1)
	s_or_b32 s18, s18, 1
	v_cmp_lt_u64_e64 s5, s[18:19], s[20:21]
	s_delay_alu instid0(VALU_DEP_1)
	s_and_b32 s5, s5, exec_lo
	s_cselect_b32 s5, 0, s20
	s_cselect_b32 s3, s3, s10
	s_cselect_b32 s10, 0, s21
	s_sub_u32 s18, s18, s5
	s_subb_u32 s19, s19, s10
	s_or_b32 s10, s3, 0x10000
	s_lshl_b64 s[18:19], s[18:19], 1
	s_delay_alu instid0(SALU_CYCLE_1) | instskip(NEXT) | instid1(SALU_CYCLE_1)
	s_or_b32 s18, s18, 1
	v_cmp_lt_u64_e64 s5, s[18:19], s[20:21]
	s_delay_alu instid0(VALU_DEP_1)
	s_and_b32 s5, s5, exec_lo
	s_cselect_b32 s5, 0, s20
	s_cselect_b32 s3, s3, s10
	s_cselect_b32 s10, 0, s21
	s_sub_u32 s18, s18, s5
	s_subb_u32 s19, s19, s10
	s_or_b32 s10, s3, 0x8000
	s_lshl_b64 s[18:19], s[18:19], 1
	s_delay_alu instid0(SALU_CYCLE_1) | instskip(NEXT) | instid1(SALU_CYCLE_1)
	s_or_b32 s18, s18, 1
	v_cmp_lt_u64_e64 s5, s[18:19], s[20:21]
	s_delay_alu instid0(VALU_DEP_1)
	s_and_b32 s5, s5, exec_lo
	s_cselect_b32 s5, 0, s20
	s_cselect_b32 s3, s3, s10
	s_cselect_b32 s10, 0, s21
	s_sub_u32 s18, s18, s5
	s_subb_u32 s19, s19, s10
	s_or_b32 s10, s3, 0x4000
	s_lshl_b64 s[18:19], s[18:19], 1
	s_delay_alu instid0(SALU_CYCLE_1) | instskip(NEXT) | instid1(SALU_CYCLE_1)
	s_or_b32 s18, s18, 1
	v_cmp_lt_u64_e64 s5, s[18:19], s[20:21]
	s_delay_alu instid0(VALU_DEP_1)
	s_and_b32 s5, s5, exec_lo
	s_cselect_b32 s5, 0, s20
	s_cselect_b32 s3, s3, s10
	s_cselect_b32 s10, 0, s21
	s_sub_u32 s18, s18, s5
	s_subb_u32 s19, s19, s10
	s_or_b32 s10, s3, 0x2000
	s_lshl_b64 s[18:19], s[18:19], 1
	s_delay_alu instid0(SALU_CYCLE_1) | instskip(NEXT) | instid1(SALU_CYCLE_1)
	s_or_b32 s18, s18, 1
	v_cmp_lt_u64_e64 s5, s[18:19], s[20:21]
	s_delay_alu instid0(VALU_DEP_1)
	s_and_b32 s5, s5, exec_lo
	s_cselect_b32 s5, 0, s20
	s_cselect_b32 s3, s3, s10
	s_cselect_b32 s10, 0, s21
	s_sub_u32 s18, s18, s5
	s_subb_u32 s19, s19, s10
	s_or_b32 s10, s3, 0x1000
	s_lshl_b64 s[18:19], s[18:19], 1
	s_delay_alu instid0(SALU_CYCLE_1) | instskip(NEXT) | instid1(SALU_CYCLE_1)
	s_or_b32 s18, s18, 1
	v_cmp_lt_u64_e64 s5, s[18:19], s[20:21]
	s_delay_alu instid0(VALU_DEP_1)
	s_and_b32 s5, s5, exec_lo
	s_cselect_b32 s5, 0, s20
	s_cselect_b32 s3, s3, s10
	s_cselect_b32 s10, 0, s21
	s_sub_u32 s18, s18, s5
	s_subb_u32 s19, s19, s10
	s_or_b32 s10, s3, 0x800
	s_lshl_b64 s[18:19], s[18:19], 1
	s_delay_alu instid0(SALU_CYCLE_1) | instskip(NEXT) | instid1(SALU_CYCLE_1)
	s_or_b32 s18, s18, 1
	v_cmp_lt_u64_e64 s5, s[18:19], s[20:21]
	s_delay_alu instid0(VALU_DEP_1)
	s_and_b32 s5, s5, exec_lo
	s_cselect_b32 s5, 0, s20
	s_cselect_b32 s3, s3, s10
	s_cselect_b32 s10, 0, s21
	s_sub_u32 s18, s18, s5
	s_subb_u32 s19, s19, s10
	s_or_b32 s10, s3, 0x400
	s_lshl_b64 s[18:19], s[18:19], 1
	s_delay_alu instid0(SALU_CYCLE_1) | instskip(NEXT) | instid1(SALU_CYCLE_1)
	s_or_b32 s18, s18, 1
	v_cmp_lt_u64_e64 s5, s[18:19], s[20:21]
	s_delay_alu instid0(VALU_DEP_1)
	s_and_b32 s5, s5, exec_lo
	s_cselect_b32 s5, 0, s20
	s_cselect_b32 s3, s3, s10
	s_cselect_b32 s10, 0, s21
	s_sub_u32 s18, s18, s5
	s_subb_u32 s19, s19, s10
	s_or_b32 s10, s3, 0x200
	s_lshl_b64 s[18:19], s[18:19], 1
	s_delay_alu instid0(SALU_CYCLE_1) | instskip(NEXT) | instid1(SALU_CYCLE_1)
	s_or_b32 s18, s18, 1
	v_cmp_lt_u64_e64 s5, s[18:19], s[20:21]
	s_delay_alu instid0(VALU_DEP_1)
	s_and_b32 s5, s5, exec_lo
	s_cselect_b32 s5, 0, s20
	s_cselect_b32 s3, s3, s10
	s_cselect_b32 s10, 0, s21
	s_sub_u32 s18, s18, s5
	s_subb_u32 s19, s19, s10
	s_or_b32 s10, s3, 0x100
	s_lshl_b64 s[18:19], s[18:19], 1
	s_delay_alu instid0(SALU_CYCLE_1) | instskip(NEXT) | instid1(SALU_CYCLE_1)
	s_or_b32 s18, s18, 1
	v_cmp_lt_u64_e64 s5, s[18:19], s[20:21]
	s_delay_alu instid0(VALU_DEP_1)
	s_and_b32 s5, s5, exec_lo
	s_cselect_b32 s5, 0, s20
	s_cselect_b32 s3, s3, s10
	s_cselect_b32 s10, 0, s21
	s_sub_u32 s18, s18, s5
	s_subb_u32 s19, s19, s10
	s_or_b32 s10, s3, 0x80
	s_lshl_b64 s[18:19], s[18:19], 1
	s_delay_alu instid0(SALU_CYCLE_1) | instskip(NEXT) | instid1(SALU_CYCLE_1)
	s_or_b32 s18, s18, 1
	v_cmp_lt_u64_e64 s5, s[18:19], s[20:21]
	s_delay_alu instid0(VALU_DEP_1)
	s_and_b32 s5, s5, exec_lo
	s_cselect_b32 s5, 0, s20
	s_cselect_b32 s3, s3, s10
	s_cselect_b32 s10, 0, s21
	s_sub_u32 s18, s18, s5
	s_subb_u32 s19, s19, s10
	s_or_b32 s10, s3, 64
	s_lshl_b64 s[18:19], s[18:19], 1
	s_delay_alu instid0(SALU_CYCLE_1) | instskip(NEXT) | instid1(SALU_CYCLE_1)
	s_or_b32 s18, s18, 1
	v_cmp_lt_u64_e64 s5, s[18:19], s[20:21]
	s_delay_alu instid0(VALU_DEP_1)
	s_and_b32 s5, s5, exec_lo
	s_cselect_b32 s5, 0, s20
	s_cselect_b32 s3, s3, s10
	s_cselect_b32 s10, 0, s21
	s_sub_u32 s18, s18, s5
	s_subb_u32 s19, s19, s10
	s_or_b32 s10, s3, 32
	s_lshl_b64 s[18:19], s[18:19], 1
	s_delay_alu instid0(SALU_CYCLE_1) | instskip(NEXT) | instid1(SALU_CYCLE_1)
	s_or_b32 s18, s18, 1
	v_cmp_lt_u64_e64 s5, s[18:19], s[20:21]
	s_delay_alu instid0(VALU_DEP_1)
	s_and_b32 s5, s5, exec_lo
	s_cselect_b32 s5, 0, s20
	s_cselect_b32 s3, s3, s10
	s_cselect_b32 s10, 0, s21
	s_sub_u32 s18, s18, s5
	s_subb_u32 s19, s19, s10
	s_or_b32 s10, s3, 16
	s_lshl_b64 s[18:19], s[18:19], 1
	s_delay_alu instid0(SALU_CYCLE_1) | instskip(NEXT) | instid1(SALU_CYCLE_1)
	s_or_b32 s18, s18, 1
	v_cmp_lt_u64_e64 s5, s[18:19], s[20:21]
	s_delay_alu instid0(VALU_DEP_1)
	s_and_b32 s5, s5, exec_lo
	s_cselect_b32 s5, 0, s20
	s_cselect_b32 s3, s3, s10
	s_cselect_b32 s10, 0, s21
	s_sub_u32 s18, s18, s5
	s_subb_u32 s19, s19, s10
	s_or_b32 s10, s3, 8
	s_lshl_b64 s[18:19], s[18:19], 1
	s_delay_alu instid0(SALU_CYCLE_1) | instskip(NEXT) | instid1(SALU_CYCLE_1)
	s_or_b32 s18, s18, 1
	v_cmp_lt_u64_e64 s5, s[18:19], s[20:21]
	s_delay_alu instid0(VALU_DEP_1)
	s_and_b32 s5, s5, exec_lo
	s_cselect_b32 s5, 0, s20
	s_cselect_b32 s3, s3, s10
	s_cselect_b32 s10, 0, s21
	s_sub_u32 s18, s18, s5
	s_subb_u32 s19, s19, s10
	s_or_b32 s10, s3, 4
	s_lshl_b64 s[18:19], s[18:19], 1
	s_delay_alu instid0(SALU_CYCLE_1) | instskip(NEXT) | instid1(SALU_CYCLE_1)
	s_or_b32 s18, s18, 1
	v_cmp_lt_u64_e64 s5, s[18:19], s[20:21]
	s_delay_alu instid0(VALU_DEP_1)
	s_and_b32 s5, s5, exec_lo
	s_cselect_b32 s5, 0, s20
	s_cselect_b32 s3, s3, s10
	s_cselect_b32 s10, 0, s21
	s_sub_u32 s18, s18, s5
	s_subb_u32 s19, s19, s10
	s_or_b32 s10, s3, 2
	s_lshl_b64 s[18:19], s[18:19], 1
	s_delay_alu instid0(SALU_CYCLE_1) | instskip(NEXT) | instid1(SALU_CYCLE_1)
	s_or_b32 s18, s18, 1
	v_cmp_lt_u64_e64 s5, s[18:19], s[20:21]
	s_delay_alu instid0(VALU_DEP_1)
	s_and_b32 s5, s5, exec_lo
	s_cselect_b32 s5, 0, s20
	s_cselect_b32 s3, s3, s10
	s_cselect_b32 s10, 0, s21
	s_sub_u32 s18, s18, s5
	s_subb_u32 s19, s19, s10
	s_or_b32 s10, s3, 1
	s_lshl_b64 s[18:19], s[18:19], 1
	s_delay_alu instid0(SALU_CYCLE_1) | instskip(NEXT) | instid1(SALU_CYCLE_1)
	s_or_b32 s18, s18, 1
	v_cmp_lt_u64_e64 s5, s[18:19], s[20:21]
	s_delay_alu instid0(VALU_DEP_1)
	s_and_b32 s5, s5, exec_lo
	s_cselect_b32 s5, s3, s10
	s_cselect_b32 s3, 0, s20
	;; [unrolled: 1-line block ×3, first 2 shown]
	s_sub_u32 s18, s18, s3
	s_subb_u32 s19, s19, s10
	s_or_b32 s10, s14, 0x80000000
	s_lshl_b64 s[18:19], s[18:19], 1
	v_mov_b32_e32 v9, s5
	s_or_b32 s18, s18, 1
	s_delay_alu instid0(SALU_CYCLE_1) | instskip(NEXT) | instid1(VALU_DEP_1)
	v_cmp_lt_u64_e64 s3, s[18:19], s[20:21]
	s_and_b32 s3, s3, exec_lo
	s_cselect_b32 s3, s14, s10
	s_cselect_b32 s10, 0, s20
	;; [unrolled: 1-line block ×3, first 2 shown]
	s_sub_u32 s14, s18, s10
	s_subb_u32 s15, s19, s15
	s_or_b32 s17, s3, 2.0
	s_lshl_b64 s[14:15], s[14:15], 1
	s_delay_alu instid0(SALU_CYCLE_1) | instskip(NEXT) | instid1(SALU_CYCLE_1)
	s_or_b32 s14, s14, 1
	v_cmp_lt_u64_e64 s10, s[14:15], s[20:21]
	s_delay_alu instid0(VALU_DEP_1)
	s_and_b32 s10, s10, exec_lo
	s_cselect_b32 s10, 0, s20
	s_cselect_b32 s3, s3, s17
	s_cselect_b32 s17, 0, s21
	s_sub_u32 s14, s14, s10
	s_subb_u32 s15, s15, s17
	s_or_b32 s17, s3, 0x20000000
	s_lshl_b64 s[14:15], s[14:15], 1
	s_delay_alu instid0(SALU_CYCLE_1) | instskip(NEXT) | instid1(SALU_CYCLE_1)
	s_or_b32 s14, s14, 1
	v_cmp_lt_u64_e64 s10, s[14:15], s[20:21]
	s_delay_alu instid0(VALU_DEP_1)
	s_and_b32 s10, s10, exec_lo
	s_cselect_b32 s10, 0, s20
	s_cselect_b32 s3, s3, s17
	s_cselect_b32 s17, 0, s21
	s_sub_u32 s14, s14, s10
	s_subb_u32 s15, s15, s17
	s_or_b32 s17, s3, 0x10000000
	;; [unrolled: 12-line block ×29, first 2 shown]
	s_lshl_b64 s[14:15], s[14:15], 1
	s_delay_alu instid0(SALU_CYCLE_1) | instskip(NEXT) | instid1(SALU_CYCLE_1)
	s_or_b32 s14, s14, 1
	v_cmp_lt_u64_e64 s10, s[14:15], s[20:21]
	s_delay_alu instid0(VALU_DEP_1)
	s_and_b32 s10, s10, exec_lo
	s_cselect_b32 s10, 0, s20
	s_cselect_b32 s3, s3, s17
	;; [unrolled: 1-line block ×3, first 2 shown]
	s_sub_u32 s14, s14, s10
	s_subb_u32 s15, s15, s17
	s_delay_alu instid0(SALU_CYCLE_1) | instskip(NEXT) | instid1(SALU_CYCLE_1)
	s_lshl_b64 s[14:15], s[14:15], 1
	s_or_b32 s14, s14, 1
	s_delay_alu instid0(SALU_CYCLE_1) | instskip(NEXT) | instid1(VALU_DEP_1)
	v_cmp_ge_u64_e64 s10, s[14:15], s[20:21]
	v_cndmask_b32_e64 v8, 0, 1, s10
	s_delay_alu instid0(VALU_DEP_1)
	v_or_b32_e32 v8, s3, v8
.LBB2_707:                              ;   in Loop: Header=BB2_569 Depth=2
	v_cmp_lt_i32_e32 vcc_lo, 0, v135
	v_cndmask_b32_e32 v11, 0, v96, vcc_lo
	s_delay_alu instid0(VALU_DEP_1) | instskip(NEXT) | instid1(VALU_DEP_1)
	v_sub_nc_u32_e32 v11, v11, v135
	v_lshl_add_u32 v11, v11, 5, v131
	s_delay_alu instid0(VALU_DEP_1) | instskip(NEXT) | instid1(VALU_DEP_1)
	v_ashrrev_i32_e32 v67, 31, v11
	v_lshrrev_b32_e32 v67, 27, v67
	s_delay_alu instid0(VALU_DEP_1) | instskip(NEXT) | instid1(VALU_DEP_1)
	v_add_nc_u32_e32 v67, v11, v67
	v_and_b32_e32 v68, 0x1fffffe0, v67
	v_lshlrev_b32_e32 v67, 3, v67
	s_delay_alu instid0(VALU_DEP_2) | instskip(NEXT) | instid1(VALU_DEP_2)
	v_sub_nc_u32_e32 v11, v11, v68
	v_and_b32_e32 v67, 0xffffff00, v67
	s_delay_alu instid0(VALU_DEP_1) | instskip(NEXT) | instid1(VALU_DEP_1)
	v_lshl_add_u32 v11, v11, 3, v67
	v_sub_nc_u32_e32 v131, v10, v11
	s_delay_alu instid0(VALU_DEP_1)
	v_cmp_lt_i32_e32 vcc_lo, 7, v131
	s_and_b32 exec_lo, exec_lo, vcc_lo
	s_cbranch_execz .LBB2_713
; %bb.708:                              ;   in Loop: Header=BB2_569 Depth=2
	s_cbranch_execnz .LBB2_1875
; %bb.709:                              ;   in Loop: Header=BB2_569 Depth=2
	ds_load_b128 v[67:70], v0
	v_sub_nc_u32_e32 v2, v134, v2
	v_add_nc_u32_e32 v10, v133, v84
	s_mov_b32 s3, 0
	s_delay_alu instid0(VALU_DEP_2) | instskip(SKIP_1) | instid1(VALU_DEP_2)
	v_cndmask_b32_e64 v2, 0, v2, s13
	v_cmp_gt_i32_e64 s13, 0, v85
	v_add3_u32 v2, v10, v2, v11
	s_delay_alu instid0(VALU_DEP_1) | instskip(SKIP_2) | instid1(VALU_DEP_2)
	v_ashrrev_i32_e32 v80, 31, v2
	s_waitcnt lgkmcnt(0)
	v_add_co_u32 v10, vcc_lo, v67, v2
	v_add_co_ci_u32_e32 v11, vcc_lo, v68, v80, vcc_lo
	v_add_co_u32 v67, vcc_lo, v69, v2
	v_add_co_ci_u32_e32 v68, vcc_lo, v70, v80, vcc_lo
	s_delay_alu instid0(VALU_DEP_3) | instskip(NEXT) | instid1(VALU_DEP_2)
	v_dual_mov_b32 v70, v11 :: v_dual_mov_b32 v69, v10
	v_dual_mov_b32 v81, v68 :: v_dual_mov_b32 v80, v67
.LBB2_710:                              ;   Parent Loop BB2_55 Depth=1
                                        ;     Parent Loop BB2_569 Depth=2
                                        ; =>    This Loop Header: Depth=3
                                        ;         Child Loop BB2_711 Depth 4
	flat_load_b64 v[82:83], v[69:70] slc dlc
	flat_load_b64 v[84:85], v[80:81] slc dlc
	s_mov_b32 s5, -1
	s_waitcnt vmcnt(0) lgkmcnt(0)
	v_add_co_u32 v82, vcc_lo, v84, v82
	v_add_co_ci_u32_e32 v83, vcc_lo, v85, v83, vcc_lo
	s_delay_alu instid0(VALU_DEP_2) | instskip(NEXT) | instid1(VALU_DEP_2)
	v_sub_co_u32 v2, s14, 0, v82
	v_cmp_gt_i64_e32 vcc_lo, 0, v[82:83]
	v_sub_co_ci_u32_e64 v84, s14, 0, v83, s14
	s_and_b32 vcc_lo, s13, vcc_lo
	s_delay_alu instid0(VALU_DEP_1) | instskip(SKIP_1) | instid1(VALU_DEP_2)
	v_dual_cndmask_b32 v85, v83, v84 :: v_dual_cndmask_b32 v144, v82, v2
	v_mov_b32_e32 v84, v3
	v_mul_hi_u32 v2, v144, v8
	s_delay_alu instid0(VALU_DEP_1) | instskip(NEXT) | instid1(VALU_DEP_1)
	v_mad_u64_u32 v[82:83], null, v85, v8, v[2:3]
	v_mov_b32_e32 v2, v82
	s_delay_alu instid0(VALU_DEP_2) | instskip(NEXT) | instid1(VALU_DEP_2)
	v_mad_u64_u32 v[134:135], null, v85, v9, v[83:84]
	v_mad_u64_u32 v[132:133], null, v144, v9, v[2:3]
	s_delay_alu instid0(VALU_DEP_1) | instskip(NEXT) | instid1(VALU_DEP_1)
	v_mov_b32_e32 v2, v133
	v_add_co_u32 v2, s14, v134, v2
	s_delay_alu instid0(VALU_DEP_1) | instskip(NEXT) | instid1(VALU_DEP_2)
	v_add_co_ci_u32_e64 v84, s14, 0, v135, s14
	v_mul_lo_u32 v133, v2, s21
	v_mad_u64_u32 v[82:83], null, v2, s20, 0
	s_delay_alu instid0(VALU_DEP_3) | instskip(NEXT) | instid1(VALU_DEP_2)
	v_mul_lo_u32 v132, v84, s20
	v_sub_co_u32 v82, s14, v144, v82
	s_delay_alu instid0(VALU_DEP_2) | instskip(NEXT) | instid1(VALU_DEP_1)
	v_add3_u32 v83, v83, v133, v132
	v_sub_co_ci_u32_e64 v83, s14, v85, v83, s14
	s_delay_alu instid0(VALU_DEP_1) | instskip(NEXT) | instid1(VALU_DEP_1)
	v_cmp_le_u64_e64 s14, s[20:21], v[82:83]
	v_cndmask_b32_e64 v82, 0, 1, s14
	s_delay_alu instid0(VALU_DEP_1) | instskip(NEXT) | instid1(VALU_DEP_1)
	v_add_co_u32 v2, s14, v2, v82
	v_add_co_ci_u32_e64 v82, s14, 0, v84, s14
	s_delay_alu instid0(VALU_DEP_2) | instskip(NEXT) | instid1(VALU_DEP_1)
	v_sub_co_u32 v84, s14, 0, v2
	v_sub_co_ci_u32_e64 v83, s14, 0, v82, s14
	s_mov_b64 s[14:15], 0
	s_delay_alu instid0(VALU_DEP_1) | instskip(NEXT) | instid1(VALU_DEP_3)
	v_cndmask_b32_e32 v83, v82, v83, vcc_lo
	v_cndmask_b32_e32 v82, v2, v84, vcc_lo
.LBB2_711:                              ;   Parent Loop BB2_55 Depth=1
                                        ;     Parent Loop BB2_569 Depth=2
                                        ;       Parent Loop BB2_710 Depth=3
                                        ; =>      This Inner Loop Header: Depth=4
	s_cmp_eq_u32 s14, 0
	v_cndmask_b32_e64 v2, 0, 1, s5
	s_cselect_b32 vcc_lo, -1, 0
	s_cmp_eq_u32 s14, 1
	s_mov_b32 s5, 0
	s_cselect_b32 s14, -1, 0
	s_delay_alu instid0(SALU_CYCLE_1) | instskip(SKIP_1) | instid1(VALU_DEP_2)
	v_cndmask_b32_e64 v84, v10, v67, s14
	v_cndmask_b32_e64 v85, v11, v68, s14
	v_add_co_u32 v132, s15, 0x100, v84
	s_delay_alu instid0(VALU_DEP_1) | instskip(SKIP_1) | instid1(VALU_DEP_3)
	v_add_co_ci_u32_e64 v133, s15, 0, v85, s15
	v_cmp_ne_u32_e64 s15, 1, v2
	v_cndmask_b32_e64 v67, v67, v132, s14
	v_cndmask_b32_e32 v10, v10, v132, vcc_lo
	s_delay_alu instid0(VALU_DEP_4)
	v_cndmask_b32_e64 v68, v68, v133, s14
	v_cndmask_b32_e32 v11, v11, v133, vcc_lo
	s_and_b32 vcc_lo, exec_lo, s15
	s_mov_b64 s[14:15], 1
	flat_store_b64 v[84:85], v[82:83] glc slc dlc
	s_cbranch_vccz .LBB2_711
; %bb.712:                              ;   in Loop: Header=BB2_710 Depth=3
	v_add_co_u32 v69, vcc_lo, v69, v117
	v_add_co_ci_u32_e32 v70, vcc_lo, v70, v118, vcc_lo
	v_add_co_u32 v80, vcc_lo, v80, v117
	v_sub_nc_u32_e32 v131, v131, v101
	v_add_co_ci_u32_e32 v81, vcc_lo, v81, v118, vcc_lo
	v_add_co_u32 v10, vcc_lo, v10, v113
	v_add_co_ci_u32_e32 v11, vcc_lo, v11, v116, vcc_lo
	s_delay_alu instid0(VALU_DEP_4) | instskip(SKIP_1) | instid1(VALU_DEP_1)
	v_cmp_gt_i32_e32 vcc_lo, 8, v131
	v_add_co_u32 v67, s14, v67, v113
	v_add_co_ci_u32_e64 v68, s14, v68, v116, s14
	s_or_b32 s3, vcc_lo, s3
	s_delay_alu instid0(SALU_CYCLE_1)
	s_and_not1_b32 exec_lo, exec_lo, s3
	s_cbranch_execnz .LBB2_710
.LBB2_713:                              ;   in Loop: Header=BB2_569 Depth=2
	s_or_b32 exec_lo, exec_lo, s16
.LBB2_714:                              ;   in Loop: Header=BB2_569 Depth=2
	s_delay_alu instid0(SALU_CYCLE_1)
	s_or_b32 exec_lo, exec_lo, s30
	s_mov_b32 s3, 0
.LBB2_715:                              ;   in Loop: Header=BB2_569 Depth=2
	s_delay_alu instid0(SALU_CYCLE_1)
	s_and_b32 vcc_lo, exec_lo, s3
	s_cbranch_vccz .LBB2_773
; %bb.716:                              ;   in Loop: Header=BB2_569 Depth=2
	s_mov_b32 s3, -1
	s_and_saveexec_b32 s5, s12
	s_cbranch_execz .LBB2_718
; %bb.717:                              ;   in Loop: Header=BB2_569 Depth=2
	ds_load_b32 v2, v0 offset:720
	s_waitcnt lgkmcnt(0)
	v_and_b32_e32 v2, 15, v2
	s_delay_alu instid0(VALU_DEP_1)
	v_cmp_eq_u32_e32 vcc_lo, 0, v2
	s_or_not1_b32 s3, vcc_lo, exec_lo
.LBB2_718:                              ;   in Loop: Header=BB2_569 Depth=2
	s_or_b32 exec_lo, exec_lo, s5
	s_delay_alu instid0(SALU_CYCLE_1) | instskip(SKIP_1) | instid1(VALU_DEP_1)
	s_mov_b32 s5, exec_lo
	v_readlane_b32 s10, v42, 3
	s_and_b32 s10, s5, s10
	s_delay_alu instid0(SALU_CYCLE_1)
	s_mov_b32 exec_lo, s10
	s_cbranch_execz .LBB2_720
; %bb.719:                              ;   in Loop: Header=BB2_569 Depth=2
	ds_load_b32 v2, v0 offset:784
	s_waitcnt lgkmcnt(0)
	v_and_b32_e32 v2, 15, v2
	s_delay_alu instid0(VALU_DEP_1) | instskip(SKIP_3) | instid1(SALU_CYCLE_1)
	v_cmp_eq_u32_e32 vcc_lo, 0, v2
	s_and_b32 s10, s3, vcc_lo
	s_and_not1_b32 s3, s3, exec_lo
	s_and_b32 s10, s10, exec_lo
	s_or_b32 s3, s3, s10
.LBB2_720:                              ;   in Loop: Header=BB2_569 Depth=2
	s_or_b32 exec_lo, exec_lo, s5
	s_xor_b32 s3, s3, -1
	v_alignbit_b32 v70, v66, v66, 1
	v_cndmask_b32_e64 v2, 0, 1, s3
	;;#ASMSTART
	;;#ASMEND
	s_delay_alu instid0(VALU_DEP_1)
	v_cmp_ne_u32_e32 vcc_lo, 0, v2
	s_mov_b32 s21, -1
	s_cbranch_vccz .LBB2_722
; %bb.721:                              ;   in Loop: Header=BB2_569 Depth=2
	v_readfirstlane_b32 s3, v70
	v_readlane_b32 s14, v42, 1
	v_readlane_b32 s15, v42, 2
	s_mov_b32 s21, 0
	s_mov_b32 s22, -1
	s_and_b32 s20, s3, 0x7fffffff
	s_delay_alu instid0(SALU_CYCLE_1) | instskip(NEXT) | instid1(SALU_CYCLE_1)
	s_mov_b32 s14, s20
	v_writelane_b32 v42, s14, 1
	v_writelane_b32 v42, s15, 2
	s_branch .LBB2_723
.LBB2_722:                              ;   in Loop: Header=BB2_569 Depth=2
	s_mov_b32 s22, 0
.LBB2_723:                              ;   in Loop: Header=BB2_569 Depth=2
	s_and_not1_b32 vcc_lo, exec_lo, s21
	s_cbranch_vccnz .LBB2_727
; %bb.724:                              ;   in Loop: Header=BB2_569 Depth=2
	v_readfirstlane_b32 s3, v70
	v_readlane_b32 s14, v42, 1
	v_mov_b32_e32 v8, -1
	v_readlane_b32 s15, v42, 2
	v_readfirstlane_b32 s23, v70
	s_and_b32 s14, s3, 0x7fffffff
	v_mov_b32_e32 v9, -1
	v_writelane_b32 v42, s14, 1
	s_cmp_lt_i32 s14, 1
	v_writelane_b32 v42, s15, 2
	s_cbranch_scc1 .LBB2_730
; %bb.725:                              ;   in Loop: Header=BB2_569 Depth=2
	s_delay_alu instid0(VALU_DEP_1) | instskip(SKIP_1) | instid1(VALU_DEP_2)
	v_readlane_b32 s14, v42, 1
	v_readlane_b32 s15, v42, 2
	s_cmp_lg_u32 s14, 1
	s_cbranch_scc1 .LBB2_728
; %bb.726:                              ;   in Loop: Header=BB2_569 Depth=2
	v_readlane_b32 s14, v42, 5
	v_readlane_b32 s15, v42, 6
	s_mov_b64 s[20:21], 1
	s_delay_alu instid0(VALU_DEP_1) | instskip(SKIP_4) | instid1(VALU_DEP_2)
	s_mov_b32 s17, s15
	v_readlane_b32 s14, v42, 1
	v_readlane_b32 s15, v42, 2
	s_mov_b32 s13, s17
	v_writelane_b32 v42, s12, 5
	s_mov_b32 s16, s15
	s_delay_alu instid0(SALU_CYCLE_1)
	s_mov_b64 s[14:15], s[16:17]
	v_writelane_b32 v42, s13, 6
	s_branch .LBB2_729
.LBB2_727:                              ;   in Loop: Header=BB2_569 Depth=2
	v_dual_mov_b32 v80, s21 :: v_dual_mov_b32 v81, v98
	v_mov_b32_e32 v2, v97
	s_branch .LBB2_750
.LBB2_728:                              ;   in Loop: Header=BB2_569 Depth=2
	s_mov_b64 s[20:21], 3
	s_mov_b64 s[14:15], 0
.LBB2_729:                              ;   in Loop: Header=BB2_569 Depth=2
	s_delay_alu instid0(VALU_DEP_1) | instskip(SKIP_2) | instid1(VALU_DEP_1)
	v_readlane_b32 s16, v42, 1
	v_readlane_b32 s17, v42, 2
	s_or_b32 s5, s15, 2.0
	v_cmp_lt_u64_e64 s3, s[20:21], s[16:17]
	s_delay_alu instid0(VALU_DEP_1)
	s_and_b32 s3, s3, exec_lo
	s_cselect_b32 s3, s15, s5
	s_cselect_b32 s5, 0, s16
	s_cselect_b32 s10, 0, 0
	s_sub_u32 s18, s20, s5
	s_subb_u32 s19, s21, s10
	s_or_b32 s10, s3, 0x20000000
	s_lshl_b64 s[18:19], s[18:19], 1
	s_delay_alu instid0(SALU_CYCLE_1) | instskip(NEXT) | instid1(SALU_CYCLE_1)
	s_or_b32 s18, s18, 1
	v_cmp_lt_u64_e64 s5, s[18:19], s[16:17]
	s_delay_alu instid0(VALU_DEP_1)
	s_and_b32 s5, s5, exec_lo
	s_cselect_b32 s5, 0, s16
	s_cselect_b32 s3, s3, s10
	s_cselect_b32 s10, 0, 0
	s_sub_u32 s18, s18, s5
	s_subb_u32 s19, s19, s10
	s_or_b32 s10, s3, 0x10000000
	s_lshl_b64 s[18:19], s[18:19], 1
	s_delay_alu instid0(SALU_CYCLE_1) | instskip(NEXT) | instid1(SALU_CYCLE_1)
	s_or_b32 s18, s18, 1
	;; [unrolled: 12-line block ×30, first 2 shown]
	v_cmp_lt_u64_e64 s5, s[18:19], s[16:17]
	s_delay_alu instid0(VALU_DEP_1)
	s_and_b32 s5, s5, exec_lo
	s_cselect_b32 s5, s3, s10
	s_cselect_b32 s3, 0, s16
	;; [unrolled: 1-line block ×3, first 2 shown]
	s_sub_u32 s18, s18, s3
	s_subb_u32 s19, s19, s10
	s_or_b32 s10, s14, 0x80000000
	s_lshl_b64 s[18:19], s[18:19], 1
	v_mov_b32_e32 v9, s5
	s_or_b32 s18, s18, 1
	s_delay_alu instid0(SALU_CYCLE_1) | instskip(NEXT) | instid1(VALU_DEP_1)
	v_cmp_lt_u64_e64 s3, s[18:19], s[16:17]
	s_and_b32 s3, s3, exec_lo
	s_cselect_b32 s3, s14, s10
	s_cselect_b32 s10, 0, s16
	s_cselect_b32 s13, 0, 0
	s_sub_u32 s14, s18, s10
	s_subb_u32 s15, s19, s13
	s_or_b32 s13, s3, 2.0
	s_lshl_b64 s[14:15], s[14:15], 1
	s_delay_alu instid0(SALU_CYCLE_1) | instskip(NEXT) | instid1(SALU_CYCLE_1)
	s_or_b32 s14, s14, 1
	v_cmp_lt_u64_e64 s10, s[14:15], s[16:17]
	s_delay_alu instid0(VALU_DEP_1)
	s_and_b32 s10, s10, exec_lo
	s_cselect_b32 s10, 0, s16
	s_cselect_b32 s3, s3, s13
	s_cselect_b32 s13, 0, 0
	s_sub_u32 s14, s14, s10
	s_subb_u32 s15, s15, s13
	s_or_b32 s13, s3, 0x20000000
	s_lshl_b64 s[14:15], s[14:15], 1
	s_delay_alu instid0(SALU_CYCLE_1) | instskip(NEXT) | instid1(SALU_CYCLE_1)
	s_or_b32 s14, s14, 1
	v_cmp_lt_u64_e64 s10, s[14:15], s[16:17]
	s_delay_alu instid0(VALU_DEP_1)
	s_and_b32 s10, s10, exec_lo
	s_cselect_b32 s10, 0, s16
	s_cselect_b32 s3, s3, s13
	s_cselect_b32 s13, 0, 0
	s_sub_u32 s14, s14, s10
	s_subb_u32 s15, s15, s13
	s_or_b32 s13, s3, 0x10000000
	;; [unrolled: 12-line block ×29, first 2 shown]
	s_lshl_b64 s[14:15], s[14:15], 1
	s_delay_alu instid0(SALU_CYCLE_1) | instskip(NEXT) | instid1(SALU_CYCLE_1)
	s_or_b32 s14, s14, 1
	v_cmp_lt_u64_e64 s10, s[14:15], s[16:17]
	s_delay_alu instid0(VALU_DEP_1)
	s_and_b32 s10, s10, exec_lo
	s_cselect_b32 s10, 0, s16
	s_cselect_b32 s3, s3, s13
	;; [unrolled: 1-line block ×3, first 2 shown]
	s_sub_u32 s14, s14, s10
	s_subb_u32 s15, s15, s13
	s_delay_alu instid0(SALU_CYCLE_1) | instskip(NEXT) | instid1(SALU_CYCLE_1)
	s_lshl_b64 s[14:15], s[14:15], 1
	s_or_b32 s14, s14, 1
	s_delay_alu instid0(SALU_CYCLE_1) | instskip(NEXT) | instid1(VALU_DEP_1)
	v_cmp_ge_u64_e64 s10, s[14:15], s[16:17]
	v_cndmask_b32_e64 v2, 0, 1, s10
	s_delay_alu instid0(VALU_DEP_1)
	v_or_b32_e32 v8, s3, v2
.LBB2_730:                              ;   in Loop: Header=BB2_569 Depth=2
	v_ashrrev_i32_e32 v2, 31, v55
	v_sub_nc_u32_e32 v80, v55, v0
	s_mov_b32 s5, exec_lo
	s_delay_alu instid0(VALU_DEP_2) | instskip(NEXT) | instid1(VALU_DEP_1)
	v_lshrrev_b32_e32 v2, 23, v2
	v_add_nc_u32_e32 v2, v55, v2
	s_delay_alu instid0(VALU_DEP_1) | instskip(SKIP_1) | instid1(VALU_DEP_2)
	v_and_b32_e32 v70, 0xfffffe00, v2
	v_ashrrev_i32_e32 v2, 9, v2
	v_sub_nc_u32_e32 v83, v55, v70
	s_delay_alu instid0(VALU_DEP_1) | instskip(NEXT) | instid1(VALU_DEP_3)
	v_cmp_lt_i32_e32 vcc_lo, 15, v83
	v_add_co_ci_u32_e64 v84, s13, v2, v119, vcc_lo
	v_cmpx_lt_i32_e32 15, v80
	s_cbranch_execz .LBB2_735
; %bb.731:                              ;   in Loop: Header=BB2_569 Depth=2
	s_cbranch_execnz .LBB2_1821
; %bb.732:                              ;   in Loop: Header=BB2_569 Depth=2
	ds_load_b128 v[66:69], v0
	ds_load_b64 v[81:82], v0
	s_cmp_lt_i32 s23, 0
	s_mov_b32 s10, 0
	s_cselect_b32 s17, -1, 0
	s_waitcnt lgkmcnt(1)
	v_add_co_u32 v10, s13, v66, v0
	s_delay_alu instid0(VALU_DEP_1) | instskip(SKIP_1) | instid1(VALU_DEP_1)
	v_add_co_ci_u32_e64 v11, s13, v67, v128, s13
	v_add_co_u32 v66, s13, v68, v0
	v_add_co_ci_u32_e64 v67, s13, v69, v128, s13
	s_waitcnt lgkmcnt(0)
	v_add_co_u32 v68, s13, v81, v0
	s_delay_alu instid0(VALU_DEP_1)
	v_add_co_ci_u32_e64 v69, s13, v82, v128, s13
.LBB2_733:                              ;   Parent Loop BB2_55 Depth=1
                                        ;     Parent Loop BB2_569 Depth=2
                                        ; =>    This Inner Loop Header: Depth=3
	global_load_b128 v[131:134], v[10:11], off slc dlc
	global_load_b128 v[144:147], v[66:67], off slc dlc
	v_readlane_b32 s18, v42, 1
	v_readlane_b32 s19, v42, 2
	v_add_co_u32 v10, s13, v10, v114
	v_sub_nc_u32_e32 v80, v80, v99
	v_add_co_ci_u32_e64 v11, s13, v11, v115, s13
	v_add_co_u32 v66, s13, v66, v114
	s_delay_alu instid0(VALU_DEP_1) | instskip(NEXT) | instid1(VALU_DEP_4)
	v_add_co_ci_u32_e64 v67, s13, v67, v115, s13
	v_cmp_gt_i32_e64 s13, 16, v80
	v_sub_nc_u32_e32 v84, v84, v96
	s_waitcnt vmcnt(0)
	v_add_co_u32 v131, s14, v144, v131
	s_delay_alu instid0(VALU_DEP_1) | instskip(SKIP_1) | instid1(VALU_DEP_1)
	v_add_co_ci_u32_e64 v132, s14, v145, v132, s14
	v_add_co_u32 v133, s14, v146, v133
	v_add_co_ci_u32_e64 v134, s14, v147, v134, s14
	s_delay_alu instid0(VALU_DEP_3) | instskip(SKIP_1) | instid1(VALU_DEP_1)
	v_cmp_gt_i64_e64 s14, 0, v[131:132]
	v_sub_co_u32 v2, s15, 0, v131
	v_sub_co_ci_u32_e64 v81, s15, 0, v132, s15
	s_delay_alu instid0(VALU_DEP_4) | instskip(NEXT) | instid1(VALU_DEP_4)
	v_cmp_gt_i64_e64 s15, 0, v[133:134]
	s_and_b32 s14, s17, s14
	v_sub_co_u32 v85, s16, 0, v133
	v_cndmask_b32_e64 v148, v131, v2, s14
	v_cndmask_b32_e64 v146, v132, v81, s14
	s_delay_alu instid0(VALU_DEP_4) | instskip(SKIP_1) | instid1(VALU_DEP_3)
	s_and_b32 s15, s17, s15
	v_sub_co_ci_u32_e64 v144, s16, 0, v134, s16
	v_mul_hi_u32 v2, v148, v8
	v_cndmask_b32_e64 v85, v133, v85, s15
	s_or_b32 s10, s13, s10
	s_delay_alu instid0(VALU_DEP_3) | instskip(NEXT) | instid1(VALU_DEP_3)
	v_cndmask_b32_e64 v147, v134, v144, s15
	v_mad_u64_u32 v[131:132], null, v146, v8, v[2:3]
	s_delay_alu instid0(VALU_DEP_1) | instskip(NEXT) | instid1(VALU_DEP_2)
	v_dual_mov_b32 v82, v3 :: v_dual_mov_b32 v81, v132
	v_mov_b32_e32 v2, v131
	s_delay_alu instid0(VALU_DEP_2) | instskip(NEXT) | instid1(VALU_DEP_2)
	v_mad_u64_u32 v[133:134], null, v146, v9, v[81:82]
	v_mad_u64_u32 v[131:132], null, v148, v9, v[2:3]
	v_mul_hi_u32 v2, v85, v8
	s_delay_alu instid0(VALU_DEP_2) | instskip(NEXT) | instid1(VALU_DEP_2)
	v_mov_b32_e32 v131, v132
	v_mad_u64_u32 v[81:82], null, v147, v8, v[2:3]
	v_mov_b32_e32 v135, v3
	s_delay_alu instid0(VALU_DEP_3) | instskip(NEXT) | instid1(VALU_DEP_1)
	v_add_co_u32 v133, s16, v133, v131
	v_add_co_ci_u32_e64 v149, s16, 0, v134, s16
	s_delay_alu instid0(VALU_DEP_4) | instskip(SKIP_1) | instid1(VALU_DEP_4)
	v_mov_b32_e32 v2, v81
	v_mov_b32_e32 v134, v82
	v_mad_u64_u32 v[81:82], null, v133, s18, 0
	s_delay_alu instid0(VALU_DEP_3) | instskip(NEXT) | instid1(VALU_DEP_3)
	v_mad_u64_u32 v[131:132], null, v85, v9, v[2:3]
	v_mad_u64_u32 v[144:145], null, v147, v9, v[134:135]
	s_delay_alu instid0(VALU_DEP_3) | instskip(NEXT) | instid1(VALU_DEP_3)
	v_mov_b32_e32 v2, v82
	v_mov_b32_e32 v82, v132
	s_delay_alu instid0(VALU_DEP_2) | instskip(NEXT) | instid1(VALU_DEP_2)
	v_mad_u64_u32 v[131:132], null, v149, s18, v[2:3]
	v_add_co_u32 v134, s16, v144, v82
	s_delay_alu instid0(VALU_DEP_1) | instskip(SKIP_1) | instid1(VALU_DEP_4)
	v_add_co_ci_u32_e64 v135, s16, 0, v145, s16
	v_sub_co_u32 v81, s16, v148, v81
	v_mov_b32_e32 v2, v131
	s_delay_alu instid0(VALU_DEP_4) | instskip(NEXT) | instid1(VALU_DEP_2)
	v_mad_u64_u32 v[131:132], null, v134, s18, 0
	v_sub_co_ci_u32_e64 v82, s16, v146, v2, s16
	s_delay_alu instid0(VALU_DEP_2) | instskip(NEXT) | instid1(VALU_DEP_2)
	v_mov_b32_e32 v2, v132
	v_cmp_le_u64_e64 s16, s[18:19], v[81:82]
	s_delay_alu instid0(VALU_DEP_2) | instskip(NEXT) | instid1(VALU_DEP_2)
	v_mad_u64_u32 v[81:82], null, v135, s18, v[2:3]
	v_cndmask_b32_e64 v132, 0, 1, s16
	s_delay_alu instid0(VALU_DEP_1) | instskip(NEXT) | instid1(VALU_DEP_1)
	v_add_co_u32 v2, s16, v133, v132
	v_add_co_ci_u32_e64 v82, s16, 0, v149, s16
	s_delay_alu instid0(VALU_DEP_4) | instskip(NEXT) | instid1(VALU_DEP_3)
	v_mov_b32_e32 v144, v81
	v_sub_co_u32 v133, s16, 0, v2
	s_delay_alu instid0(VALU_DEP_1) | instskip(SKIP_1) | instid1(VALU_DEP_3)
	v_sub_co_ci_u32_e64 v132, s16, 0, v82, s16
	v_sub_co_u32 v81, s16, v85, v131
	v_cndmask_b32_e64 v131, v2, v133, s14
	s_delay_alu instid0(VALU_DEP_3) | instskip(SKIP_1) | instid1(VALU_DEP_1)
	v_cndmask_b32_e64 v132, v82, v132, s14
	v_sub_co_ci_u32_e64 v82, s14, v147, v144, s16
	v_cmp_le_u64_e64 s14, s[18:19], v[81:82]
	s_delay_alu instid0(VALU_DEP_1) | instskip(NEXT) | instid1(VALU_DEP_1)
	v_cndmask_b32_e64 v2, 0, 1, s14
	v_add_co_u32 v2, s14, v134, v2
	s_delay_alu instid0(VALU_DEP_1) | instskip(NEXT) | instid1(VALU_DEP_2)
	v_add_co_ci_u32_e64 v81, s14, 0, v135, s14
	v_sub_co_u32 v82, s14, 0, v2
	s_delay_alu instid0(VALU_DEP_1) | instskip(NEXT) | instid1(VALU_DEP_2)
	v_sub_co_ci_u32_e64 v85, s14, 0, v81, s14
	v_cndmask_b32_e64 v133, v2, v82, s15
	s_delay_alu instid0(VALU_DEP_2) | instskip(SKIP_2) | instid1(VALU_DEP_1)
	v_cndmask_b32_e64 v134, v81, v85, s15
	global_store_b128 v[68:69], v[131:134], off glc slc dlc
	v_add_co_u32 v68, s14, v68, v114
	v_add_co_ci_u32_e64 v69, s14, v69, v115, s14
	s_and_not1_b32 exec_lo, exec_lo, s10
	s_cbranch_execnz .LBB2_733
; %bb.734:                              ;   in Loop: Header=BB2_569 Depth=2
	s_or_b32 exec_lo, exec_lo, s10
.LBB2_735:                              ;   in Loop: Header=BB2_569 Depth=2
	s_delay_alu instid0(SALU_CYCLE_1) | instskip(SKIP_2) | instid1(VALU_DEP_1)
	s_or_b32 exec_lo, exec_lo, s5
	v_and_b32_e32 v10, 8, v55
	s_mov_b32 s17, exec_lo
                                        ; implicit-def: $vgpr55
                                        ; implicit-def: $vgpr80
                                        ; implicit-def: $vgpr81
                                        ; implicit-def: $sgpr20_sgpr21
                                        ; implicit-def: $vgpr2
	v_cndmask_b32_e32 v82, v83, v10, vcc_lo
	s_delay_alu instid0(VALU_DEP_1)
	v_cmpx_ne_u32_e32 0, v82
	s_cbranch_execz .LBB2_749
; %bb.736:                              ;   in Loop: Header=BB2_569 Depth=2
	v_readlane_b32 s14, v42, 1
	v_mov_b32_e32 v8, -1
	v_mov_b32_e32 v9, -1
	v_readlane_b32 s15, v42, 2
	s_delay_alu instid0(VALU_DEP_4)
	s_cmp_lt_i32 s14, 1
	s_cbranch_scc1 .LBB2_741
; %bb.737:                              ;   in Loop: Header=BB2_569 Depth=2
	v_readlane_b32 s14, v42, 1
	v_readlane_b32 s15, v42, 2
	s_delay_alu instid0(VALU_DEP_2)
	s_cmp_lg_u32 s14, 1
	s_cbranch_scc1 .LBB2_739
; %bb.738:                              ;   in Loop: Header=BB2_569 Depth=2
	v_readlane_b32 s14, v42, 5
	v_readlane_b32 s15, v42, 6
	s_mov_b64 s[20:21], 1
	s_delay_alu instid0(VALU_DEP_1) | instskip(SKIP_4) | instid1(VALU_DEP_2)
	s_mov_b32 s19, s15
	v_readlane_b32 s14, v42, 1
	v_readlane_b32 s15, v42, 2
	s_mov_b32 s13, s19
	v_writelane_b32 v42, s12, 5
	s_mov_b32 s18, s15
	s_delay_alu instid0(SALU_CYCLE_1)
	s_mov_b64 s[14:15], s[18:19]
	v_writelane_b32 v42, s13, 6
	s_branch .LBB2_740
.LBB2_739:                              ;   in Loop: Header=BB2_569 Depth=2
	s_mov_b64 s[20:21], 3
	s_mov_b64 s[14:15], 0
.LBB2_740:                              ;   in Loop: Header=BB2_569 Depth=2
	s_delay_alu instid0(VALU_DEP_1) | instskip(SKIP_2) | instid1(VALU_DEP_1)
	v_readlane_b32 s18, v42, 1
	v_readlane_b32 s19, v42, 2
	s_or_b32 s5, s15, 2.0
	v_cmp_lt_u64_e64 s3, s[20:21], s[18:19]
	s_delay_alu instid0(VALU_DEP_1)
	s_and_b32 s3, s3, exec_lo
	s_cselect_b32 s3, s15, s5
	s_cselect_b32 s5, 0, s18
	s_cselect_b32 s10, 0, 0
	s_sub_u32 s20, s20, s5
	s_subb_u32 s21, s21, s10
	s_or_b32 s10, s3, 0x20000000
	s_lshl_b64 s[20:21], s[20:21], 1
	s_delay_alu instid0(SALU_CYCLE_1) | instskip(NEXT) | instid1(SALU_CYCLE_1)
	s_or_b32 s20, s20, 1
	v_cmp_lt_u64_e64 s5, s[20:21], s[18:19]
	s_delay_alu instid0(VALU_DEP_1)
	s_and_b32 s5, s5, exec_lo
	s_cselect_b32 s5, 0, s18
	s_cselect_b32 s3, s3, s10
	s_cselect_b32 s10, 0, 0
	s_sub_u32 s20, s20, s5
	s_subb_u32 s21, s21, s10
	s_or_b32 s10, s3, 0x10000000
	s_lshl_b64 s[20:21], s[20:21], 1
	s_delay_alu instid0(SALU_CYCLE_1) | instskip(NEXT) | instid1(SALU_CYCLE_1)
	s_or_b32 s20, s20, 1
	;; [unrolled: 12-line block ×30, first 2 shown]
	v_cmp_lt_u64_e64 s5, s[20:21], s[18:19]
	s_delay_alu instid0(VALU_DEP_1)
	s_and_b32 s5, s5, exec_lo
	s_cselect_b32 s5, s3, s10
	s_cselect_b32 s3, 0, s18
	;; [unrolled: 1-line block ×3, first 2 shown]
	s_sub_u32 s20, s20, s3
	s_subb_u32 s21, s21, s10
	s_or_b32 s10, s14, 0x80000000
	s_lshl_b64 s[20:21], s[20:21], 1
	v_mov_b32_e32 v9, s5
	s_or_b32 s20, s20, 1
	s_delay_alu instid0(SALU_CYCLE_1) | instskip(NEXT) | instid1(VALU_DEP_1)
	v_cmp_lt_u64_e64 s3, s[20:21], s[18:19]
	s_and_b32 s3, s3, exec_lo
	s_cselect_b32 s3, s14, s10
	s_cselect_b32 s10, 0, s18
	;; [unrolled: 1-line block ×3, first 2 shown]
	s_sub_u32 s14, s20, s10
	s_subb_u32 s15, s21, s13
	s_or_b32 s13, s3, 2.0
	s_lshl_b64 s[14:15], s[14:15], 1
	s_delay_alu instid0(SALU_CYCLE_1) | instskip(NEXT) | instid1(SALU_CYCLE_1)
	s_or_b32 s14, s14, 1
	v_cmp_lt_u64_e64 s10, s[14:15], s[18:19]
	s_delay_alu instid0(VALU_DEP_1)
	s_and_b32 s10, s10, exec_lo
	s_cselect_b32 s10, 0, s18
	s_cselect_b32 s3, s3, s13
	s_cselect_b32 s13, 0, 0
	s_sub_u32 s14, s14, s10
	s_subb_u32 s15, s15, s13
	s_or_b32 s13, s3, 0x20000000
	s_lshl_b64 s[14:15], s[14:15], 1
	s_delay_alu instid0(SALU_CYCLE_1) | instskip(NEXT) | instid1(SALU_CYCLE_1)
	s_or_b32 s14, s14, 1
	v_cmp_lt_u64_e64 s10, s[14:15], s[18:19]
	s_delay_alu instid0(VALU_DEP_1)
	s_and_b32 s10, s10, exec_lo
	s_cselect_b32 s10, 0, s18
	s_cselect_b32 s3, s3, s13
	s_cselect_b32 s13, 0, 0
	s_sub_u32 s14, s14, s10
	s_subb_u32 s15, s15, s13
	s_or_b32 s13, s3, 0x10000000
	;; [unrolled: 12-line block ×29, first 2 shown]
	s_lshl_b64 s[14:15], s[14:15], 1
	s_delay_alu instid0(SALU_CYCLE_1) | instskip(NEXT) | instid1(SALU_CYCLE_1)
	s_or_b32 s14, s14, 1
	v_cmp_lt_u64_e64 s10, s[14:15], s[18:19]
	s_delay_alu instid0(VALU_DEP_1)
	s_and_b32 s10, s10, exec_lo
	s_cselect_b32 s10, 0, s18
	s_cselect_b32 s3, s3, s13
	;; [unrolled: 1-line block ×3, first 2 shown]
	s_sub_u32 s14, s14, s10
	s_subb_u32 s15, s15, s13
	s_delay_alu instid0(SALU_CYCLE_1) | instskip(NEXT) | instid1(SALU_CYCLE_1)
	s_lshl_b64 s[14:15], s[14:15], 1
	s_or_b32 s14, s14, 1
	s_delay_alu instid0(SALU_CYCLE_1) | instskip(NEXT) | instid1(VALU_DEP_1)
	v_cmp_ge_u64_e64 s10, s[14:15], s[18:19]
	v_cndmask_b32_e64 v2, 0, 1, s10
	s_delay_alu instid0(VALU_DEP_1)
	v_or_b32_e32 v8, s3, v2
.LBB2_741:                              ;   in Loop: Header=BB2_569 Depth=2
	v_cmp_lt_i32_e64 s13, 0, v84
	v_ashrrev_i32_e32 v55, 31, v82
	v_sub_nc_u32_e32 v10, v83, v10
	s_mov_b32 s5, exec_lo
	s_delay_alu instid0(VALU_DEP_3) | instskip(NEXT) | instid1(VALU_DEP_3)
	v_cndmask_b32_e64 v2, 0, v96, s13
	v_lshrrev_b32_e32 v55, 23, v55
	s_delay_alu instid0(VALU_DEP_3) | instskip(NEXT) | instid1(VALU_DEP_3)
	v_cndmask_b32_e32 v10, 0, v10, vcc_lo
	v_sub_nc_u32_e32 v2, v2, v84
	s_delay_alu instid0(VALU_DEP_3) | instskip(NEXT) | instid1(VALU_DEP_3)
	v_add_nc_u32_e32 v55, v82, v55
	v_add_nc_u32_e32 v70, v10, v70
	s_delay_alu instid0(VALU_DEP_3) | instskip(NEXT) | instid1(VALU_DEP_3)
	v_lshl_add_u32 v2, v2, 5, v98
	v_and_b32_e32 v84, 0xfffffe00, v55
	v_ashrrev_i32_e32 v55, 9, v55
	s_delay_alu instid0(VALU_DEP_3) | instskip(NEXT) | instid1(VALU_DEP_3)
	v_ashrrev_i32_e32 v11, 31, v2
	v_sub_nc_u32_e32 v83, v82, v84
	s_delay_alu instid0(VALU_DEP_2) | instskip(NEXT) | instid1(VALU_DEP_2)
	v_lshrrev_b32_e32 v11, 27, v11
	v_cmp_lt_i32_e32 vcc_lo, 15, v83
	s_delay_alu instid0(VALU_DEP_2) | instskip(NEXT) | instid1(VALU_DEP_1)
	v_add_nc_u32_e32 v11, v2, v11
	v_and_b32_e32 v66, 0xffffffe0, v11
	v_ashrrev_i32_e32 v11, 5, v11
	s_delay_alu instid0(VALU_DEP_2) | instskip(SKIP_1) | instid1(VALU_DEP_2)
	v_sub_nc_u32_e32 v85, v2, v66
	v_add_co_ci_u32_e64 v66, s13, 0, v55, vcc_lo
	v_lshlrev_b32_e32 v2, 4, v85
	s_delay_alu instid0(VALU_DEP_2) | instskip(NEXT) | instid1(VALU_DEP_2)
	v_sub_nc_u32_e32 v131, v66, v11
	v_lshl_add_u32 v2, v11, 9, v2
	s_delay_alu instid0(VALU_DEP_1) | instskip(NEXT) | instid1(VALU_DEP_1)
	v_sub_nc_u32_e32 v55, v82, v2
	v_cmpx_lt_i32_e32 15, v55
	s_cbranch_execz .LBB2_746
; %bb.742:                              ;   in Loop: Header=BB2_569 Depth=2
	s_cbranch_execnz .LBB2_1889
; %bb.743:                              ;   in Loop: Header=BB2_569 Depth=2
	ds_load_b128 v[66:69], v0
	ds_load_b64 v[80:81], v0
	v_add_nc_u32_e32 v2, v2, v70
	s_cmp_lt_i32 s23, 0
	s_mov_b32 s10, 0
	s_cselect_b32 s20, -1, 0
	s_delay_alu instid0(VALU_DEP_1) | instskip(SKIP_2) | instid1(VALU_DEP_1)
	v_ashrrev_i32_e32 v132, 31, v2
	s_waitcnt lgkmcnt(1)
	v_add_co_u32 v10, s13, v66, v2
	v_add_co_ci_u32_e64 v11, s13, v67, v132, s13
	v_add_co_u32 v66, s13, v68, v2
	s_delay_alu instid0(VALU_DEP_1) | instskip(SKIP_2) | instid1(VALU_DEP_1)
	v_add_co_ci_u32_e64 v67, s13, v69, v132, s13
	s_waitcnt lgkmcnt(0)
	v_add_co_u32 v68, s13, v80, v2
	v_add_co_ci_u32_e64 v69, s13, v81, v132, s13
.LBB2_744:                              ;   Parent Loop BB2_55 Depth=1
                                        ;     Parent Loop BB2_569 Depth=2
                                        ; =>    This Inner Loop Header: Depth=3
	global_load_b128 v[132:135], v[10:11], off slc dlc
	global_load_b128 v[144:147], v[66:67], off slc dlc
	v_readlane_b32 s18, v42, 1
	v_readlane_b32 s19, v42, 2
	v_add_co_u32 v10, s13, v10, v114
	v_sub_nc_u32_e32 v55, v55, v99
	v_add_co_ci_u32_e64 v11, s13, v11, v115, s13
	v_add_co_u32 v66, s13, v66, v114
	s_delay_alu instid0(VALU_DEP_1) | instskip(NEXT) | instid1(VALU_DEP_4)
	v_add_co_ci_u32_e64 v67, s13, v67, v115, s13
	v_cmp_gt_i32_e64 s13, 16, v55
	v_sub_nc_u32_e32 v131, v131, v96
	s_waitcnt vmcnt(0)
	v_add_co_u32 v132, s14, v144, v132
	s_delay_alu instid0(VALU_DEP_1) | instskip(SKIP_1) | instid1(VALU_DEP_1)
	v_add_co_ci_u32_e64 v133, s14, v145, v133, s14
	v_add_co_u32 v134, s14, v146, v134
	v_add_co_ci_u32_e64 v135, s14, v147, v135, s14
	s_delay_alu instid0(VALU_DEP_3) | instskip(SKIP_1) | instid1(VALU_DEP_1)
	v_cmp_gt_i64_e64 s14, 0, v[132:133]
	v_sub_co_u32 v2, s15, 0, v132
	v_sub_co_ci_u32_e64 v80, s15, 0, v133, s15
	s_delay_alu instid0(VALU_DEP_4) | instskip(NEXT) | instid1(VALU_DEP_4)
	v_cmp_gt_i64_e64 s15, 0, v[134:135]
	s_and_b32 s14, s20, s14
	v_sub_co_u32 v144, s16, 0, v134
	v_cndmask_b32_e64 v149, v132, v2, s14
	v_cndmask_b32_e64 v146, v133, v80, s14
	s_delay_alu instid0(VALU_DEP_4) | instskip(SKIP_1) | instid1(VALU_DEP_3)
	s_and_b32 s15, s20, s15
	v_sub_co_ci_u32_e64 v145, s16, 0, v135, s16
	v_mul_hi_u32 v2, v149, v8
	v_cndmask_b32_e64 v144, v134, v144, s15
	s_or_b32 s10, s13, s10
	s_delay_alu instid0(VALU_DEP_3) | instskip(NEXT) | instid1(VALU_DEP_3)
	v_cndmask_b32_e64 v145, v135, v145, s15
	v_mad_u64_u32 v[132:133], null, v146, v8, v[2:3]
	s_delay_alu instid0(VALU_DEP_1) | instskip(NEXT) | instid1(VALU_DEP_2)
	v_dual_mov_b32 v81, v3 :: v_dual_mov_b32 v2, v132
	v_mov_b32_e32 v80, v133
	s_delay_alu instid0(VALU_DEP_2) | instskip(SKIP_1) | instid1(VALU_DEP_3)
	v_mad_u64_u32 v[132:133], null, v149, v9, v[2:3]
	v_mul_hi_u32 v2, v144, v8
	v_mad_u64_u32 v[134:135], null, v146, v9, v[80:81]
	s_delay_alu instid0(VALU_DEP_3) | instskip(NEXT) | instid1(VALU_DEP_3)
	v_mov_b32_e32 v132, v133
	v_mad_u64_u32 v[80:81], null, v145, v8, v[2:3]
	v_mov_b32_e32 v148, v3
	s_delay_alu instid0(VALU_DEP_3) | instskip(NEXT) | instid1(VALU_DEP_1)
	v_add_co_u32 v150, s16, v134, v132
	v_add_co_ci_u32_e64 v151, s16, 0, v135, s16
	s_delay_alu instid0(VALU_DEP_4) | instskip(NEXT) | instid1(VALU_DEP_3)
	v_dual_mov_b32 v147, v81 :: v_dual_mov_b32 v2, v80
	v_mad_u64_u32 v[80:81], null, v150, s18, 0
	s_delay_alu instid0(VALU_DEP_2) | instskip(NEXT) | instid1(VALU_DEP_3)
	v_mad_u64_u32 v[134:135], null, v145, v9, v[147:148]
	v_mad_u64_u32 v[132:133], null, v144, v9, v[2:3]
	s_delay_alu instid0(VALU_DEP_3) | instskip(NEXT) | instid1(VALU_DEP_2)
	v_mov_b32_e32 v2, v81
	v_mov_b32_e32 v81, v133
	s_delay_alu instid0(VALU_DEP_2) | instskip(NEXT) | instid1(VALU_DEP_2)
	v_mad_u64_u32 v[132:133], null, v151, s18, v[2:3]
	v_add_co_u32 v134, s16, v134, v81
	s_delay_alu instid0(VALU_DEP_1) | instskip(NEXT) | instid1(VALU_DEP_3)
	v_add_co_ci_u32_e64 v135, s16, 0, v135, s16
	v_mov_b32_e32 v2, v132
	v_sub_co_u32 v80, s16, v149, v80
	s_delay_alu instid0(VALU_DEP_4) | instskip(NEXT) | instid1(VALU_DEP_3)
	v_mad_u64_u32 v[132:133], null, v134, s18, 0
	v_sub_co_ci_u32_e64 v81, s16, v146, v2, s16
	s_delay_alu instid0(VALU_DEP_1) | instskip(NEXT) | instid1(VALU_DEP_3)
	v_cmp_le_u64_e64 s16, s[18:19], v[80:81]
	v_mov_b32_e32 v2, v133
	s_delay_alu instid0(VALU_DEP_2) | instskip(NEXT) | instid1(VALU_DEP_2)
	v_cndmask_b32_e64 v133, 0, 1, s16
	v_mad_u64_u32 v[80:81], null, v135, s18, v[2:3]
	s_delay_alu instid0(VALU_DEP_2) | instskip(NEXT) | instid1(VALU_DEP_1)
	v_add_co_u32 v2, s16, v150, v133
	v_add_co_ci_u32_e64 v81, s16, 0, v151, s16
	s_delay_alu instid0(VALU_DEP_3) | instskip(NEXT) | instid1(VALU_DEP_3)
	v_mov_b32_e32 v147, v80
	v_sub_co_u32 v146, s16, 0, v2
	s_delay_alu instid0(VALU_DEP_1) | instskip(SKIP_1) | instid1(VALU_DEP_3)
	v_sub_co_ci_u32_e64 v133, s16, 0, v81, s16
	v_sub_co_u32 v80, s16, v144, v132
	v_cndmask_b32_e64 v132, v2, v146, s14
	s_delay_alu instid0(VALU_DEP_3) | instskip(SKIP_1) | instid1(VALU_DEP_1)
	v_cndmask_b32_e64 v133, v81, v133, s14
	v_sub_co_ci_u32_e64 v81, s14, v145, v147, s16
	v_cmp_le_u64_e64 s14, s[18:19], v[80:81]
	s_delay_alu instid0(VALU_DEP_1) | instskip(NEXT) | instid1(VALU_DEP_1)
	v_cndmask_b32_e64 v2, 0, 1, s14
	v_add_co_u32 v2, s14, v134, v2
	s_delay_alu instid0(VALU_DEP_1) | instskip(NEXT) | instid1(VALU_DEP_2)
	v_add_co_ci_u32_e64 v80, s14, 0, v135, s14
	v_sub_co_u32 v81, s14, 0, v2
	s_delay_alu instid0(VALU_DEP_1) | instskip(NEXT) | instid1(VALU_DEP_1)
	v_sub_co_ci_u32_e64 v134, s14, 0, v80, s14
	v_cndmask_b32_e64 v135, v80, v134, s15
	s_delay_alu instid0(VALU_DEP_3) | instskip(SKIP_2) | instid1(VALU_DEP_1)
	v_cndmask_b32_e64 v134, v2, v81, s15
	global_store_b128 v[68:69], v[132:135], off glc slc dlc
	v_add_co_u32 v68, s14, v68, v114
	v_add_co_ci_u32_e64 v69, s14, v69, v115, s14
	s_and_not1_b32 exec_lo, exec_lo, s10
	s_cbranch_execnz .LBB2_744
; %bb.745:                              ;   in Loop: Header=BB2_569 Depth=2
	s_or_b32 exec_lo, exec_lo, s10
.LBB2_746:                              ;   in Loop: Header=BB2_569 Depth=2
	s_delay_alu instid0(SALU_CYCLE_1) | instskip(SKIP_3) | instid1(VALU_DEP_1)
	s_or_b32 exec_lo, exec_lo, s5
	v_and_b32_e32 v8, 8, v82
	s_mov_b32 s3, s22
	s_mov_b32 s5, exec_lo
                                        ; implicit-def: $vgpr80
                                        ; implicit-def: $vgpr81
                                        ; implicit-def: $vgpr2
	v_cndmask_b32_e32 v55, v83, v8, vcc_lo
	s_delay_alu instid0(VALU_DEP_1)
	v_cmpx_ne_u32_e32 0, v55
	s_cbranch_execz .LBB2_748
; %bb.747:                              ;   in Loop: Header=BB2_569 Depth=2
	v_cmp_lt_i32_e64 s13, 0, v131
	v_sub_nc_u32_e32 v8, v83, v8
	s_or_b32 s3, s22, exec_lo
	s_delay_alu instid0(VALU_DEP_2) | instskip(NEXT) | instid1(VALU_DEP_2)
	v_cndmask_b32_e64 v2, 0, v96, s13
	v_cndmask_b32_e32 v8, 0, v8, vcc_lo
	s_delay_alu instid0(VALU_DEP_2) | instskip(NEXT) | instid1(VALU_DEP_2)
	v_sub_nc_u32_e32 v2, v2, v131
	v_add3_u32 v80, v84, v70, v8
	s_delay_alu instid0(VALU_DEP_2) | instskip(NEXT) | instid1(VALU_DEP_1)
	v_lshl_add_u32 v9, v2, 5, v85
	v_ashrrev_i32_e32 v2, 31, v9
	s_delay_alu instid0(VALU_DEP_1) | instskip(NEXT) | instid1(VALU_DEP_1)
	v_lshrrev_b32_e32 v2, 27, v2
	v_add_nc_u32_e32 v2, v9, v2
	s_delay_alu instid0(VALU_DEP_1) | instskip(SKIP_1) | instid1(VALU_DEP_2)
	v_and_b32_e32 v10, 0xffffffe0, v2
	v_ashrrev_i32_e32 v2, 5, v2
	v_sub_nc_u32_e32 v81, v9, v10
.LBB2_748:                              ;   in Loop: Header=BB2_569 Depth=2
	s_or_b32 exec_lo, exec_lo, s5
	s_delay_alu instid0(SALU_CYCLE_1)
	s_and_not1_b32 s5, s22, exec_lo
	s_and_b32 s3, s3, exec_lo
	v_readlane_b32 s20, v42, 1
	s_or_b32 s22, s5, s3
	v_readlane_b32 s21, v42, 2
.LBB2_749:                              ;   in Loop: Header=BB2_569 Depth=2
	s_or_b32 exec_lo, exec_lo, s17
	v_mov_b32_e32 v70, s23
.LBB2_750:                              ;   in Loop: Header=BB2_569 Depth=2
	s_and_saveexec_b32 s30, s22
	s_cbranch_execz .LBB2_772
; %bb.751:                              ;   in Loop: Header=BB2_569 Depth=2
	v_readlane_b32 s14, v42, 1
	v_mov_b32_e32 v8, -1
	v_mov_b32_e32 v9, -1
	v_readlane_b32 s15, v42, 2
	s_delay_alu instid0(VALU_DEP_4)
	s_cmp_lt_i32 s14, 1
	s_cbranch_scc1 .LBB2_756
; %bb.752:                              ;   in Loop: Header=BB2_569 Depth=2
	v_readlane_b32 s14, v42, 1
	v_readlane_b32 s15, v42, 2
	s_delay_alu instid0(VALU_DEP_2)
	s_cmp_lg_u32 s14, 1
	s_cbranch_scc1 .LBB2_754
; %bb.753:                              ;   in Loop: Header=BB2_569 Depth=2
	v_readlane_b32 s14, v42, 5
	v_readlane_b32 s15, v42, 6
	s_mov_b64 s[22:23], 1
	s_delay_alu instid0(VALU_DEP_1) | instskip(SKIP_4) | instid1(VALU_DEP_2)
	s_mov_b32 s17, s15
	v_readlane_b32 s14, v42, 1
	v_readlane_b32 s15, v42, 2
	s_mov_b32 s13, s17
	v_writelane_b32 v42, s12, 5
	s_mov_b32 s16, s15
	s_delay_alu instid0(SALU_CYCLE_1)
	s_mov_b64 s[14:15], s[16:17]
	v_writelane_b32 v42, s13, 6
	s_branch .LBB2_755
.LBB2_754:                              ;   in Loop: Header=BB2_569 Depth=2
	s_mov_b64 s[22:23], 3
	s_mov_b64 s[14:15], 0
.LBB2_755:                              ;   in Loop: Header=BB2_569 Depth=2
	v_cmp_lt_u64_e64 s3, s[22:23], s[20:21]
	s_or_b32 s5, s15, 2.0
	s_delay_alu instid0(VALU_DEP_1)
	s_and_b32 s3, s3, exec_lo
	s_cselect_b32 s3, s15, s5
	s_cselect_b32 s5, 0, s20
	s_cselect_b32 s10, 0, s21
	s_sub_u32 s16, s22, s5
	s_subb_u32 s17, s23, s10
	s_or_b32 s10, s3, 0x20000000
	s_lshl_b64 s[16:17], s[16:17], 1
	s_delay_alu instid0(SALU_CYCLE_1) | instskip(NEXT) | instid1(SALU_CYCLE_1)
	s_or_b32 s16, s16, 1
	v_cmp_lt_u64_e64 s5, s[16:17], s[20:21]
	s_delay_alu instid0(VALU_DEP_1)
	s_and_b32 s5, s5, exec_lo
	s_cselect_b32 s5, 0, s20
	s_cselect_b32 s3, s3, s10
	s_cselect_b32 s10, 0, s21
	s_sub_u32 s16, s16, s5
	s_subb_u32 s17, s17, s10
	s_or_b32 s10, s3, 0x10000000
	s_lshl_b64 s[16:17], s[16:17], 1
	s_delay_alu instid0(SALU_CYCLE_1) | instskip(NEXT) | instid1(SALU_CYCLE_1)
	s_or_b32 s16, s16, 1
	v_cmp_lt_u64_e64 s5, s[16:17], s[20:21]
	;; [unrolled: 12-line block ×30, first 2 shown]
	s_delay_alu instid0(VALU_DEP_1)
	s_and_b32 s5, s5, exec_lo
	s_cselect_b32 s5, s3, s10
	s_cselect_b32 s3, 0, s20
	;; [unrolled: 1-line block ×3, first 2 shown]
	s_sub_u32 s16, s16, s3
	s_subb_u32 s17, s17, s10
	s_or_b32 s10, s14, 0x80000000
	s_lshl_b64 s[16:17], s[16:17], 1
	v_mov_b32_e32 v9, s5
	s_or_b32 s16, s16, 1
	s_delay_alu instid0(SALU_CYCLE_1) | instskip(NEXT) | instid1(VALU_DEP_1)
	v_cmp_lt_u64_e64 s3, s[16:17], s[20:21]
	s_and_b32 s3, s3, exec_lo
	s_cselect_b32 s3, s14, s10
	s_cselect_b32 s10, 0, s20
	;; [unrolled: 1-line block ×3, first 2 shown]
	s_sub_u32 s14, s16, s10
	s_subb_u32 s15, s17, s13
	s_or_b32 s13, s3, 2.0
	s_lshl_b64 s[14:15], s[14:15], 1
	s_delay_alu instid0(SALU_CYCLE_1) | instskip(NEXT) | instid1(SALU_CYCLE_1)
	s_or_b32 s14, s14, 1
	v_cmp_lt_u64_e64 s10, s[14:15], s[20:21]
	s_delay_alu instid0(VALU_DEP_1)
	s_and_b32 s10, s10, exec_lo
	s_cselect_b32 s10, 0, s20
	s_cselect_b32 s3, s3, s13
	s_cselect_b32 s13, 0, s21
	s_sub_u32 s14, s14, s10
	s_subb_u32 s15, s15, s13
	s_or_b32 s13, s3, 0x20000000
	s_lshl_b64 s[14:15], s[14:15], 1
	s_delay_alu instid0(SALU_CYCLE_1) | instskip(NEXT) | instid1(SALU_CYCLE_1)
	s_or_b32 s14, s14, 1
	v_cmp_lt_u64_e64 s10, s[14:15], s[20:21]
	s_delay_alu instid0(VALU_DEP_1)
	s_and_b32 s10, s10, exec_lo
	s_cselect_b32 s10, 0, s20
	s_cselect_b32 s3, s3, s13
	s_cselect_b32 s13, 0, s21
	s_sub_u32 s14, s14, s10
	s_subb_u32 s15, s15, s13
	s_or_b32 s13, s3, 0x10000000
	;; [unrolled: 12-line block ×29, first 2 shown]
	s_lshl_b64 s[14:15], s[14:15], 1
	s_delay_alu instid0(SALU_CYCLE_1) | instskip(NEXT) | instid1(SALU_CYCLE_1)
	s_or_b32 s14, s14, 1
	v_cmp_lt_u64_e64 s10, s[14:15], s[20:21]
	s_delay_alu instid0(VALU_DEP_1)
	s_and_b32 s10, s10, exec_lo
	s_cselect_b32 s10, 0, s20
	s_cselect_b32 s3, s3, s13
	s_cselect_b32 s13, 0, s21
	s_sub_u32 s14, s14, s10
	s_subb_u32 s15, s15, s13
	s_delay_alu instid0(SALU_CYCLE_1) | instskip(NEXT) | instid1(SALU_CYCLE_1)
	s_lshl_b64 s[14:15], s[14:15], 1
	s_or_b32 s14, s14, 1
	s_delay_alu instid0(SALU_CYCLE_1) | instskip(NEXT) | instid1(VALU_DEP_1)
	v_cmp_ge_u64_e64 s10, s[14:15], s[20:21]
	v_cndmask_b32_e64 v8, 0, 1, s10
	s_delay_alu instid0(VALU_DEP_1)
	v_or_b32_e32 v8, s3, v8
.LBB2_756:                              ;   in Loop: Header=BB2_569 Depth=2
	v_ashrrev_i32_e32 v10, 31, v55
	v_lshlrev_b32_e32 v11, 3, v81
	s_mov_b32 s3, exec_lo
	s_delay_alu instid0(VALU_DEP_2) | instskip(NEXT) | instid1(VALU_DEP_1)
	v_lshrrev_b32_e32 v10, 24, v10
	v_add_nc_u32_e32 v10, v55, v10
	s_delay_alu instid0(VALU_DEP_1) | instskip(SKIP_2) | instid1(VALU_DEP_3)
	v_and_b32_e32 v82, 0xffffff00, v10
	v_ashrrev_i32_e32 v66, 8, v10
	v_lshl_add_u32 v10, v2, 8, v11
	v_sub_nc_u32_e32 v83, v55, v82
	s_delay_alu instid0(VALU_DEP_3) | instskip(NEXT) | instid1(VALU_DEP_3)
	v_sub_nc_u32_e32 v2, v66, v2
	v_sub_nc_u32_e32 v85, v55, v10
	s_delay_alu instid0(VALU_DEP_3) | instskip(NEXT) | instid1(VALU_DEP_3)
	v_cmp_lt_i32_e32 vcc_lo, 7, v83
	v_add_co_ci_u32_e64 v84, s13, 0, v2, vcc_lo
	s_delay_alu instid0(VALU_DEP_3)
	v_cmpx_lt_i32_e32 7, v85
	s_cbranch_execz .LBB2_761
; %bb.757:                              ;   in Loop: Header=BB2_569 Depth=2
	s_cbranch_execnz .LBB2_1835
; %bb.758:                              ;   in Loop: Header=BB2_569 Depth=2
	ds_load_b128 v[66:69], v0
	ds_load_b64 v[131:132], v0
	v_add_nc_u32_e32 v2, v10, v80
	v_cmp_gt_i32_e64 s13, 0, v70
	s_mov_b32 s5, 0
	s_delay_alu instid0(VALU_DEP_2) | instskip(SKIP_2) | instid1(VALU_DEP_1)
	v_ashrrev_i32_e32 v133, 31, v2
	s_waitcnt lgkmcnt(1)
	v_add_co_u32 v10, s14, v66, v2
	v_add_co_ci_u32_e64 v11, s14, v67, v133, s14
	v_add_co_u32 v66, s14, v68, v2
	s_delay_alu instid0(VALU_DEP_1) | instskip(SKIP_2) | instid1(VALU_DEP_1)
	v_add_co_ci_u32_e64 v67, s14, v69, v133, s14
	s_waitcnt lgkmcnt(0)
	v_add_co_u32 v68, s14, v131, v2
	v_add_co_ci_u32_e64 v69, s14, v132, v133, s14
.LBB2_759:                              ;   Parent Loop BB2_55 Depth=1
                                        ;     Parent Loop BB2_569 Depth=2
                                        ; =>    This Inner Loop Header: Depth=3
	flat_load_b64 v[131:132], v[10:11] slc dlc
	flat_load_b64 v[133:134], v[66:67] slc dlc
	v_add_co_u32 v10, s14, v10, v117
	v_sub_nc_u32_e32 v85, v85, v101
	v_add_co_ci_u32_e64 v11, s14, v11, v118, s14
	v_add_co_u32 v66, s14, v66, v117
	s_delay_alu instid0(VALU_DEP_1) | instskip(NEXT) | instid1(VALU_DEP_4)
	v_add_co_ci_u32_e64 v67, s14, v67, v118, s14
	v_cmp_gt_i32_e64 s14, 8, v85
	v_sub_nc_u32_e32 v84, v84, v96
	s_waitcnt vmcnt(0) lgkmcnt(0)
	v_add_co_u32 v131, s15, v133, v131
	s_delay_alu instid0(VALU_DEP_1) | instskip(NEXT) | instid1(VALU_DEP_2)
	v_add_co_ci_u32_e64 v132, s15, v134, v132, s15
	v_sub_co_u32 v2, s16, 0, v131
	s_delay_alu instid0(VALU_DEP_2) | instskip(SKIP_1) | instid1(VALU_DEP_2)
	v_cmp_gt_i64_e64 s15, 0, v[131:132]
	v_sub_co_ci_u32_e64 v133, s16, 0, v132, s16
	s_and_b32 s15, s13, s15
	s_or_b32 s5, s14, s5
	v_cndmask_b32_e64 v146, v131, v2, s15
	s_delay_alu instid0(VALU_DEP_2) | instskip(NEXT) | instid1(VALU_DEP_2)
	v_cndmask_b32_e64 v133, v132, v133, s15
	v_mul_hi_u32 v2, v146, v8
	s_delay_alu instid0(VALU_DEP_1) | instskip(NEXT) | instid1(VALU_DEP_1)
	v_mad_u64_u32 v[131:132], null, v133, v8, v[2:3]
	v_dual_mov_b32 v135, v3 :: v_dual_mov_b32 v134, v132
	s_delay_alu instid0(VALU_DEP_2) | instskip(NEXT) | instid1(VALU_DEP_2)
	v_mov_b32_e32 v2, v131
	v_mad_u64_u32 v[144:145], null, v133, v9, v[134:135]
	s_delay_alu instid0(VALU_DEP_2) | instskip(NEXT) | instid1(VALU_DEP_1)
	v_mad_u64_u32 v[131:132], null, v146, v9, v[2:3]
	v_mov_b32_e32 v2, v132
	s_delay_alu instid0(VALU_DEP_1) | instskip(NEXT) | instid1(VALU_DEP_1)
	v_add_co_u32 v2, s16, v144, v2
	v_add_co_ci_u32_e64 v134, s16, 0, v145, s16
	s_delay_alu instid0(VALU_DEP_2) | instskip(SKIP_1) | instid1(VALU_DEP_3)
	v_mul_lo_u32 v144, v2, s21
	v_mad_u64_u32 v[131:132], null, v2, s20, 0
	v_mul_lo_u32 v135, v134, s20
	s_delay_alu instid0(VALU_DEP_2) | instskip(NEXT) | instid1(VALU_DEP_2)
	v_sub_co_u32 v131, s16, v146, v131
	v_add3_u32 v132, v132, v144, v135
	s_delay_alu instid0(VALU_DEP_1) | instskip(NEXT) | instid1(VALU_DEP_1)
	v_sub_co_ci_u32_e64 v132, s16, v133, v132, s16
	v_cmp_le_u64_e64 s16, s[20:21], v[131:132]
	s_delay_alu instid0(VALU_DEP_1) | instskip(NEXT) | instid1(VALU_DEP_1)
	v_cndmask_b32_e64 v131, 0, 1, s16
	v_add_co_u32 v2, s16, v2, v131
	s_delay_alu instid0(VALU_DEP_1) | instskip(NEXT) | instid1(VALU_DEP_2)
	v_add_co_ci_u32_e64 v131, s16, 0, v134, s16
	v_sub_co_u32 v133, s16, 0, v2
	s_delay_alu instid0(VALU_DEP_1) | instskip(NEXT) | instid1(VALU_DEP_1)
	v_sub_co_ci_u32_e64 v132, s16, 0, v131, s16
	v_cndmask_b32_e64 v132, v131, v132, s15
	s_delay_alu instid0(VALU_DEP_3) | instskip(SKIP_2) | instid1(VALU_DEP_1)
	v_cndmask_b32_e64 v131, v2, v133, s15
	flat_store_b64 v[68:69], v[131:132] glc slc dlc
	v_add_co_u32 v68, s15, v68, v117
	v_add_co_ci_u32_e64 v69, s15, v69, v118, s15
	s_and_not1_b32 exec_lo, exec_lo, s5
	s_cbranch_execnz .LBB2_759
; %bb.760:                              ;   in Loop: Header=BB2_569 Depth=2
	s_or_b32 exec_lo, exec_lo, s5
.LBB2_761:                              ;   in Loop: Header=BB2_569 Depth=2
	s_delay_alu instid0(SALU_CYCLE_1) | instskip(SKIP_2) | instid1(VALU_DEP_1)
	s_or_b32 exec_lo, exec_lo, s3
	v_and_b32_e32 v2, 7, v55
	s_mov_b32 s16, exec_lo
	v_cndmask_b32_e32 v10, v83, v2, vcc_lo
	s_delay_alu instid0(VALU_DEP_1)
	v_cmpx_ne_u32_e32 0, v10
	s_cbranch_execz .LBB2_771
; %bb.762:                              ;   in Loop: Header=BB2_569 Depth=2
	v_readlane_b32 s14, v42, 1
	v_mov_b32_e32 v8, -1
	v_mov_b32_e32 v9, -1
	v_readlane_b32 s15, v42, 2
	s_delay_alu instid0(VALU_DEP_4)
	s_cmp_lt_i32 s14, 1
	s_cbranch_scc1 .LBB2_767
; %bb.763:                              ;   in Loop: Header=BB2_569 Depth=2
	v_readlane_b32 s14, v42, 1
	v_readlane_b32 s15, v42, 2
	s_delay_alu instid0(VALU_DEP_2)
	s_cmp_lg_u32 s14, 1
	s_cbranch_scc1 .LBB2_765
; %bb.764:                              ;   in Loop: Header=BB2_569 Depth=2
	v_readlane_b32 s14, v42, 5
	v_readlane_b32 s15, v42, 6
	s_mov_b64 s[22:23], 1
	s_delay_alu instid0(VALU_DEP_1) | instskip(SKIP_4) | instid1(VALU_DEP_2)
	s_mov_b32 s19, s15
	v_readlane_b32 s14, v42, 1
	v_readlane_b32 s15, v42, 2
	s_mov_b32 s13, s19
	v_writelane_b32 v42, s12, 5
	s_mov_b32 s18, s15
	s_delay_alu instid0(SALU_CYCLE_1)
	s_mov_b64 s[14:15], s[18:19]
	v_writelane_b32 v42, s13, 6
	s_branch .LBB2_766
.LBB2_765:                              ;   in Loop: Header=BB2_569 Depth=2
	s_mov_b64 s[22:23], 3
	s_mov_b64 s[14:15], 0
.LBB2_766:                              ;   in Loop: Header=BB2_569 Depth=2
	v_cmp_lt_u64_e64 s3, s[22:23], s[20:21]
	s_or_b32 s5, s15, 2.0
	s_delay_alu instid0(VALU_DEP_1)
	s_and_b32 s3, s3, exec_lo
	s_cselect_b32 s3, s15, s5
	s_cselect_b32 s5, 0, s20
	s_cselect_b32 s10, 0, s21
	s_sub_u32 s18, s22, s5
	s_subb_u32 s19, s23, s10
	s_or_b32 s10, s3, 0x20000000
	s_lshl_b64 s[18:19], s[18:19], 1
	s_delay_alu instid0(SALU_CYCLE_1) | instskip(NEXT) | instid1(SALU_CYCLE_1)
	s_or_b32 s18, s18, 1
	v_cmp_lt_u64_e64 s5, s[18:19], s[20:21]
	s_delay_alu instid0(VALU_DEP_1)
	s_and_b32 s5, s5, exec_lo
	s_cselect_b32 s5, 0, s20
	s_cselect_b32 s3, s3, s10
	s_cselect_b32 s10, 0, s21
	s_sub_u32 s18, s18, s5
	s_subb_u32 s19, s19, s10
	s_or_b32 s10, s3, 0x10000000
	s_lshl_b64 s[18:19], s[18:19], 1
	s_delay_alu instid0(SALU_CYCLE_1) | instskip(NEXT) | instid1(SALU_CYCLE_1)
	s_or_b32 s18, s18, 1
	v_cmp_lt_u64_e64 s5, s[18:19], s[20:21]
	;; [unrolled: 12-line block ×30, first 2 shown]
	s_delay_alu instid0(VALU_DEP_1)
	s_and_b32 s5, s5, exec_lo
	s_cselect_b32 s5, s3, s10
	s_cselect_b32 s3, 0, s20
	;; [unrolled: 1-line block ×3, first 2 shown]
	s_sub_u32 s18, s18, s3
	s_subb_u32 s19, s19, s10
	s_or_b32 s10, s14, 0x80000000
	s_lshl_b64 s[18:19], s[18:19], 1
	v_mov_b32_e32 v9, s5
	s_or_b32 s18, s18, 1
	s_delay_alu instid0(SALU_CYCLE_1) | instskip(NEXT) | instid1(VALU_DEP_1)
	v_cmp_lt_u64_e64 s3, s[18:19], s[20:21]
	s_and_b32 s3, s3, exec_lo
	s_cselect_b32 s3, s14, s10
	s_cselect_b32 s10, 0, s20
	;; [unrolled: 1-line block ×3, first 2 shown]
	s_sub_u32 s14, s18, s10
	s_subb_u32 s15, s19, s13
	s_or_b32 s13, s3, 2.0
	s_lshl_b64 s[14:15], s[14:15], 1
	s_delay_alu instid0(SALU_CYCLE_1) | instskip(NEXT) | instid1(SALU_CYCLE_1)
	s_or_b32 s14, s14, 1
	v_cmp_lt_u64_e64 s10, s[14:15], s[20:21]
	s_delay_alu instid0(VALU_DEP_1)
	s_and_b32 s10, s10, exec_lo
	s_cselect_b32 s10, 0, s20
	s_cselect_b32 s3, s3, s13
	s_cselect_b32 s13, 0, s21
	s_sub_u32 s14, s14, s10
	s_subb_u32 s15, s15, s13
	s_or_b32 s13, s3, 0x20000000
	s_lshl_b64 s[14:15], s[14:15], 1
	s_delay_alu instid0(SALU_CYCLE_1) | instskip(NEXT) | instid1(SALU_CYCLE_1)
	s_or_b32 s14, s14, 1
	v_cmp_lt_u64_e64 s10, s[14:15], s[20:21]
	s_delay_alu instid0(VALU_DEP_1)
	s_and_b32 s10, s10, exec_lo
	s_cselect_b32 s10, 0, s20
	s_cselect_b32 s3, s3, s13
	s_cselect_b32 s13, 0, s21
	s_sub_u32 s14, s14, s10
	s_subb_u32 s15, s15, s13
	s_or_b32 s13, s3, 0x10000000
	;; [unrolled: 12-line block ×29, first 2 shown]
	s_lshl_b64 s[14:15], s[14:15], 1
	s_delay_alu instid0(SALU_CYCLE_1) | instskip(NEXT) | instid1(SALU_CYCLE_1)
	s_or_b32 s14, s14, 1
	v_cmp_lt_u64_e64 s10, s[14:15], s[20:21]
	s_delay_alu instid0(VALU_DEP_1)
	s_and_b32 s10, s10, exec_lo
	s_cselect_b32 s10, 0, s20
	s_cselect_b32 s3, s3, s13
	;; [unrolled: 1-line block ×3, first 2 shown]
	s_sub_u32 s14, s14, s10
	s_subb_u32 s15, s15, s13
	s_delay_alu instid0(SALU_CYCLE_1) | instskip(NEXT) | instid1(SALU_CYCLE_1)
	s_lshl_b64 s[14:15], s[14:15], 1
	s_or_b32 s14, s14, 1
	s_delay_alu instid0(SALU_CYCLE_1) | instskip(NEXT) | instid1(VALU_DEP_1)
	v_cmp_ge_u64_e64 s10, s[14:15], s[20:21]
	v_cndmask_b32_e64 v8, 0, 1, s10
	s_delay_alu instid0(VALU_DEP_1)
	v_or_b32_e32 v8, s3, v8
.LBB2_767:                              ;   in Loop: Header=BB2_569 Depth=2
	v_cmp_lt_i32_e64 s13, 0, v84
	s_delay_alu instid0(VALU_DEP_1) | instskip(NEXT) | instid1(VALU_DEP_1)
	v_cndmask_b32_e64 v11, 0, v96, s13
	v_sub_nc_u32_e32 v11, v11, v84
	s_delay_alu instid0(VALU_DEP_1) | instskip(NEXT) | instid1(VALU_DEP_1)
	v_lshl_add_u32 v11, v11, 5, v81
	v_ashrrev_i32_e32 v55, 31, v11
	s_delay_alu instid0(VALU_DEP_1) | instskip(NEXT) | instid1(VALU_DEP_1)
	v_lshrrev_b32_e32 v55, 27, v55
	v_add_nc_u32_e32 v55, v11, v55
	s_delay_alu instid0(VALU_DEP_1) | instskip(SKIP_1) | instid1(VALU_DEP_2)
	v_and_b32_e32 v66, 0x1fffffe0, v55
	v_lshlrev_b32_e32 v55, 3, v55
	v_sub_nc_u32_e32 v11, v11, v66
	s_delay_alu instid0(VALU_DEP_2) | instskip(NEXT) | instid1(VALU_DEP_1)
	v_and_b32_e32 v55, 0xffffff00, v55
	v_lshl_add_u32 v11, v11, 3, v55
	s_delay_alu instid0(VALU_DEP_1) | instskip(NEXT) | instid1(VALU_DEP_1)
	v_sub_nc_u32_e32 v55, v10, v11
	v_cmp_lt_i32_e64 s13, 7, v55
	s_delay_alu instid0(VALU_DEP_1)
	s_and_b32 exec_lo, exec_lo, s13
	s_cbranch_execz .LBB2_771
; %bb.768:                              ;   in Loop: Header=BB2_569 Depth=2
	s_cbranch_execnz .LBB2_1897
; %bb.769:                              ;   in Loop: Header=BB2_569 Depth=2
	ds_load_b128 v[66:69], v0
	v_sub_nc_u32_e32 v2, v83, v2
	v_add_nc_u32_e32 v10, v82, v80
	ds_load_b64 v[80:81], v0
	s_mov_b32 s3, 0
	v_cndmask_b32_e32 v2, 0, v2, vcc_lo
	v_cmp_gt_i32_e32 vcc_lo, 0, v70
	s_delay_alu instid0(VALU_DEP_2) | instskip(NEXT) | instid1(VALU_DEP_1)
	v_add3_u32 v2, v10, v2, v11
	v_ashrrev_i32_e32 v82, 31, v2
	s_waitcnt lgkmcnt(1)
	v_add_co_u32 v10, s13, v66, v2
	s_delay_alu instid0(VALU_DEP_1) | instskip(SKIP_1) | instid1(VALU_DEP_1)
	v_add_co_ci_u32_e64 v11, s13, v67, v82, s13
	v_add_co_u32 v66, s13, v68, v2
	v_add_co_ci_u32_e64 v67, s13, v69, v82, s13
	s_waitcnt lgkmcnt(0)
	v_add_co_u32 v68, s13, v80, v2
	s_delay_alu instid0(VALU_DEP_1)
	v_add_co_ci_u32_e64 v69, s13, v81, v82, s13
.LBB2_770:                              ;   Parent Loop BB2_55 Depth=1
                                        ;     Parent Loop BB2_569 Depth=2
                                        ; =>    This Inner Loop Header: Depth=3
	flat_load_b64 v[80:81], v[10:11] slc dlc
	flat_load_b64 v[82:83], v[66:67] slc dlc
	v_add_co_u32 v10, s13, v10, v117
	v_sub_nc_u32_e32 v55, v55, v101
	v_add_co_ci_u32_e64 v11, s13, v11, v118, s13
	v_add_co_u32 v66, s13, v66, v117
	s_delay_alu instid0(VALU_DEP_1) | instskip(NEXT) | instid1(VALU_DEP_4)
	v_add_co_ci_u32_e64 v67, s13, v67, v118, s13
	v_cmp_gt_i32_e64 s13, 8, v55
	s_waitcnt vmcnt(0) lgkmcnt(0)
	v_add_co_u32 v80, s14, v82, v80
	s_delay_alu instid0(VALU_DEP_1) | instskip(NEXT) | instid1(VALU_DEP_2)
	v_add_co_ci_u32_e64 v81, s14, v83, v81, s14
	v_sub_co_u32 v2, s15, 0, v80
	s_delay_alu instid0(VALU_DEP_2) | instskip(SKIP_1) | instid1(VALU_DEP_2)
	v_cmp_gt_i64_e64 s14, 0, v[80:81]
	v_sub_co_ci_u32_e64 v70, s15, 0, v81, s15
	s_and_b32 s14, vcc_lo, s14
	s_or_b32 s3, s13, s3
	v_cndmask_b32_e64 v82, v80, v2, s14
	s_delay_alu instid0(VALU_DEP_2) | instskip(NEXT) | instid1(VALU_DEP_2)
	v_cndmask_b32_e64 v70, v81, v70, s14
	v_mul_hi_u32 v2, v82, v8
	s_delay_alu instid0(VALU_DEP_1) | instskip(NEXT) | instid1(VALU_DEP_1)
	v_mad_u64_u32 v[80:81], null, v70, v8, v[2:3]
	v_dual_mov_b32 v84, v3 :: v_dual_mov_b32 v83, v81
	s_delay_alu instid0(VALU_DEP_2) | instskip(NEXT) | instid1(VALU_DEP_2)
	v_mov_b32_e32 v2, v80
	v_mad_u64_u32 v[131:132], null, v70, v9, v[83:84]
	s_delay_alu instid0(VALU_DEP_2) | instskip(NEXT) | instid1(VALU_DEP_1)
	v_mad_u64_u32 v[80:81], null, v82, v9, v[2:3]
	v_mov_b32_e32 v2, v81
	s_delay_alu instid0(VALU_DEP_1) | instskip(NEXT) | instid1(VALU_DEP_1)
	v_add_co_u32 v2, s15, v131, v2
	v_add_co_ci_u32_e64 v83, s15, 0, v132, s15
	s_delay_alu instid0(VALU_DEP_2) | instskip(SKIP_1) | instid1(VALU_DEP_3)
	v_mul_lo_u32 v85, v2, s21
	v_mad_u64_u32 v[80:81], null, v2, s20, 0
	v_mul_lo_u32 v84, v83, s20
	s_delay_alu instid0(VALU_DEP_2) | instskip(NEXT) | instid1(VALU_DEP_2)
	v_sub_co_u32 v80, s15, v82, v80
	v_add3_u32 v81, v81, v85, v84
	s_delay_alu instid0(VALU_DEP_1) | instskip(NEXT) | instid1(VALU_DEP_1)
	v_sub_co_ci_u32_e64 v81, s15, v70, v81, s15
	v_cmp_le_u64_e64 s15, s[20:21], v[80:81]
	s_delay_alu instid0(VALU_DEP_1) | instskip(NEXT) | instid1(VALU_DEP_1)
	v_cndmask_b32_e64 v70, 0, 1, s15
	v_add_co_u32 v2, s15, v2, v70
	s_delay_alu instid0(VALU_DEP_1) | instskip(NEXT) | instid1(VALU_DEP_2)
	v_add_co_ci_u32_e64 v70, s15, 0, v83, s15
	v_sub_co_u32 v80, s15, 0, v2
	s_delay_alu instid0(VALU_DEP_1) | instskip(NEXT) | instid1(VALU_DEP_2)
	v_sub_co_ci_u32_e64 v81, s15, 0, v70, s15
	v_cndmask_b32_e64 v80, v2, v80, s14
	s_delay_alu instid0(VALU_DEP_2) | instskip(SKIP_2) | instid1(VALU_DEP_1)
	v_cndmask_b32_e64 v81, v70, v81, s14
	flat_store_b64 v[68:69], v[80:81] glc slc dlc
	v_add_co_u32 v68, s14, v68, v117
	v_add_co_ci_u32_e64 v69, s14, v69, v118, s14
	s_and_not1_b32 exec_lo, exec_lo, s3
	s_cbranch_execnz .LBB2_770
.LBB2_771:                              ;   in Loop: Header=BB2_569 Depth=2
	s_or_b32 exec_lo, exec_lo, s16
.LBB2_772:                              ;   in Loop: Header=BB2_569 Depth=2
	s_delay_alu instid0(SALU_CYCLE_1)
	s_or_b32 exec_lo, exec_lo, s30
.LBB2_773:                              ;   in Loop: Header=BB2_569 Depth=2
	s_and_saveexec_b32 s5, s38
	s_cbranch_execz .LBB2_795
; %bb.774:                              ;   in Loop: Header=BB2_569 Depth=2
	s_and_saveexec_b32 s3, s4
	s_delay_alu instid0(SALU_CYCLE_1)
	s_xor_b32 s3, exec_lo, s3
	s_cbranch_execz .LBB2_792
; %bb.775:                              ;   in Loop: Header=BB2_569 Depth=2
	s_and_saveexec_b32 s10, s1
	s_cbranch_execz .LBB2_791
; %bb.776:                              ;   in Loop: Header=BB2_569 Depth=2
	s_mov_b32 s14, exec_lo
	s_mov_b32 s13, exec_lo
	v_mbcnt_lo_u32_b32 v2, s14, 0
	s_waitcnt lgkmcnt(0)
	s_waitcnt_vscnt null, 0x0
	buffer_gl1_inv
	buffer_gl0_inv
	v_cmpx_eq_u32_e32 0, v2
	s_cbranch_execz .LBB2_778
; %bb.777:                              ;   in Loop: Header=BB2_569 Depth=2
	s_bcnt1_i32_b32 s14, s14
	s_delay_alu instid0(SALU_CYCLE_1)
	v_mov_b32_e32 v2, s14
	ds_add_u64 v0, v[2:3]
	s_cbranch_execnz .LBB2_1799
.LBB2_778:                              ;   in Loop: Header=BB2_569 Depth=2
	s_or_b32 exec_lo, exec_lo, s13
	s_cbranch_execnz .LBB2_1773
; %bb.779:                              ;   in Loop: Header=BB2_569 Depth=2
	ds_load_b64 v[8:9], v0
	v_add_co_u32 v12, vcc_lo, v12, v96
	v_add_co_ci_u32_e32 v13, vcc_lo, 0, v13, vcc_lo
	s_mov_b32 s13, exec_lo
	s_waitcnt lgkmcnt(0)
	s_delay_alu instid0(VALU_DEP_1)
	v_cmpx_lt_u64_e64 v[8:9], v[12:13]
	s_cbranch_execz .LBB2_790
; %bb.780:                              ;   in Loop: Header=BB2_569 Depth=2
	s_mov_b32 s14, 0
	s_mov_b32 s17, 0
                                        ; implicit-def: $sgpr15
                                        ; implicit-def: $sgpr16
	s_branch .LBB2_782
.LBB2_781:                              ;   in Loop: Header=BB2_782 Depth=3
	s_or_b32 exec_lo, exec_lo, s20
	s_delay_alu instid0(SALU_CYCLE_1) | instskip(NEXT) | instid1(SALU_CYCLE_1)
	s_and_b32 s18, exec_lo, s19
	s_or_b32 s14, s18, s14
	s_and_not1_b32 s15, s15, exec_lo
	s_and_b32 s18, s16, exec_lo
	s_delay_alu instid0(SALU_CYCLE_1)
	s_or_b32 s15, s15, s18
	s_and_not1_b32 exec_lo, exec_lo, s14
	s_cbranch_execz .LBB2_788
.LBB2_782:                              ;   Parent Loop BB2_55 Depth=1
                                        ;     Parent Loop BB2_569 Depth=2
                                        ; =>    This Inner Loop Header: Depth=3
	s_add_i32 s17, s17, 1
                                        ; implicit-def: $sgpr19
	s_delay_alu instid0(SALU_CYCLE_1) | instskip(SKIP_1) | instid1(SALU_CYCLE_1)
	s_cmpk_lg_i32 s17, 0x2710
	s_cselect_b32 s18, -1, 0
	s_and_b32 vcc_lo, exec_lo, s18
	s_cbranch_vccz .LBB2_786
.LBB2_783:                              ;   in Loop: Header=BB2_782 Depth=3
	s_and_not1_b32 s16, s16, exec_lo
	s_and_b32 s20, s19, exec_lo
	s_mov_b32 s19, -1
	s_or_b32 s16, s16, s20
	s_and_saveexec_b32 s20, s18
	s_cbranch_execz .LBB2_781
; %bb.784:                              ;   in Loop: Header=BB2_782 Depth=3
	s_sleep 1
	s_cbranch_execnz .LBB2_1853
; %bb.785:                              ;   in Loop: Header=BB2_782 Depth=3
	ds_load_b64 v[8:9], v0
	s_and_not1_b32 s16, s16, exec_lo
	s_waitcnt lgkmcnt(0)
	v_cmp_ge_u64_e32 vcc_lo, v[8:9], v[12:13]
	s_or_not1_b32 s19, vcc_lo, exec_lo
	s_branch .LBB2_781
.LBB2_786:                              ;   in Loop: Header=BB2_782 Depth=3
	s_cbranch_execnz .LBB2_1871
; %bb.787:                              ;   in Loop: Header=BB2_782 Depth=3
	ds_load_b64 v[8:9], v0
	s_and_not1_b32 s18, s18, exec_lo
	s_mov_b32 s17, 0
	s_mov_b32 s19, -1
	s_waitcnt lgkmcnt(0)
	flat_load_b32 v2, v[8:9] glc
	s_waitcnt vmcnt(0) lgkmcnt(0)
	buffer_gl1_inv
	buffer_gl0_inv
	v_cmp_eq_u32_e32 vcc_lo, 0, v2
	s_and_b32 s20, vcc_lo, exec_lo
	s_delay_alu instid0(SALU_CYCLE_1)
	s_or_b32 s18, s18, s20
	s_branch .LBB2_783
.LBB2_788:                              ;   in Loop: Header=BB2_569 Depth=2
	s_or_b32 exec_lo, exec_lo, s14
	s_and_saveexec_b32 s14, s15
	s_delay_alu instid0(SALU_CYCLE_1)
	s_xor_b32 s14, exec_lo, s14
	s_cbranch_execz .LBB2_790
; %bb.789:                              ;   in Loop: Header=BB2_569 Depth=2
	ds_store_b32 v0, v129
	s_cbranch_execnz .LBB2_1975
.LBB2_790:                              ;   in Loop: Header=BB2_569 Depth=2
	s_or_b32 exec_lo, exec_lo, s13
	;;#ASMSTART
	s_wakeup
	;;#ASMEND
.LBB2_791:                              ;   in Loop: Header=BB2_569 Depth=2
	s_or_b32 exec_lo, exec_lo, s10
.LBB2_792:                              ;   in Loop: Header=BB2_569 Depth=2
	s_and_not1_saveexec_b32 s3, s3
	s_cbranch_execz .LBB2_794
; %bb.793:                              ;   in Loop: Header=BB2_569 Depth=2
	s_waitcnt lgkmcnt(0)
	s_waitcnt_vscnt null, 0x0
	buffer_gl1_inv
	buffer_gl0_inv
	s_barrier
.LBB2_794:                              ;   in Loop: Header=BB2_569 Depth=2
	s_or_b32 exec_lo, exec_lo, s3
.LBB2_795:                              ;   in Loop: Header=BB2_569 Depth=2
	s_delay_alu instid0(SALU_CYCLE_1) | instskip(SKIP_1) | instid1(SALU_CYCLE_1)
	s_or_b32 exec_lo, exec_lo, s5
                                        ; implicit-def: $vgpr2
	s_and_saveexec_b32 s3, s7
	s_xor_b32 s3, exec_lo, s3
	s_cbranch_execz .LBB2_799
; %bb.796:                              ;   in Loop: Header=BB2_569 Depth=2
	v_and_b32_e32 v2, 16, v30
	v_cmp_lt_i32_e32 vcc_lo, 0, v53
	s_delay_alu instid0(VALU_DEP_2) | instskip(SKIP_1) | instid1(VALU_DEP_2)
	v_cmp_ne_u32_e64 s13, 0, v2
	v_and_b32_e32 v2, 16, v30
	s_and_b32 s10, s13, vcc_lo
	s_delay_alu instid0(SALU_CYCLE_1)
	s_and_saveexec_b32 s5, s10
	s_cbranch_execz .LBB2_798
; %bb.797:                              ;   in Loop: Header=BB2_569 Depth=2
	v_mov_b32_e32 v2, 1
	s_waitcnt lgkmcnt(0)
	s_waitcnt_vscnt null, 0x0
	buffer_gl1_inv
	buffer_gl0_inv
.LBB2_798:                              ;   in Loop: Header=BB2_569 Depth=2
	s_or_b32 exec_lo, exec_lo, s5
.LBB2_799:                              ;   in Loop: Header=BB2_569 Depth=2
	s_and_not1_saveexec_b32 s5, s3
	s_cbranch_execz .LBB2_821
; %bb.800:                              ;   in Loop: Header=BB2_569 Depth=2
	s_and_saveexec_b32 s3, s4
	s_delay_alu instid0(SALU_CYCLE_1)
	s_xor_b32 s3, exec_lo, s3
	s_cbranch_execz .LBB2_818
; %bb.801:                              ;   in Loop: Header=BB2_569 Depth=2
	s_and_saveexec_b32 s10, s1
	s_cbranch_execz .LBB2_817
; %bb.802:                              ;   in Loop: Header=BB2_569 Depth=2
	s_mov_b32 s14, exec_lo
	s_mov_b32 s13, exec_lo
	v_mbcnt_lo_u32_b32 v2, s14, 0
	;;#ASMSTART
	s_waitcnt lgkmcnt(0) vmcnt(0)
	;;#ASMEND
	s_delay_alu instid0(VALU_DEP_1)
	v_cmpx_eq_u32_e32 0, v2
	s_cbranch_execz .LBB2_804
; %bb.803:                              ;   in Loop: Header=BB2_569 Depth=2
	s_bcnt1_i32_b32 s14, s14
	s_delay_alu instid0(SALU_CYCLE_1)
	v_mov_b32_e32 v2, s14
	ds_add_u64 v0, v[2:3]
	s_cbranch_execnz .LBB2_1803
.LBB2_804:                              ;   in Loop: Header=BB2_569 Depth=2
	s_or_b32 exec_lo, exec_lo, s13
	s_cbranch_execnz .LBB2_1777
; %bb.805:                              ;   in Loop: Header=BB2_569 Depth=2
	ds_load_b64 v[8:9], v0
	v_add_co_u32 v12, vcc_lo, v12, v96
	v_add_co_ci_u32_e32 v13, vcc_lo, 0, v13, vcc_lo
	s_mov_b32 s13, exec_lo
	s_waitcnt lgkmcnt(0)
	s_delay_alu instid0(VALU_DEP_1)
	v_cmpx_lt_u64_e64 v[8:9], v[12:13]
	s_cbranch_execz .LBB2_816
; %bb.806:                              ;   in Loop: Header=BB2_569 Depth=2
	s_mov_b32 s14, 0
	s_mov_b32 s17, 0
                                        ; implicit-def: $sgpr15
                                        ; implicit-def: $sgpr16
	s_branch .LBB2_808
.LBB2_807:                              ;   in Loop: Header=BB2_808 Depth=3
	s_or_b32 exec_lo, exec_lo, s20
	s_delay_alu instid0(SALU_CYCLE_1) | instskip(NEXT) | instid1(SALU_CYCLE_1)
	s_and_b32 s18, exec_lo, s19
	s_or_b32 s14, s18, s14
	s_and_not1_b32 s15, s15, exec_lo
	s_and_b32 s18, s16, exec_lo
	s_delay_alu instid0(SALU_CYCLE_1)
	s_or_b32 s15, s15, s18
	s_and_not1_b32 exec_lo, exec_lo, s14
	s_cbranch_execz .LBB2_814
.LBB2_808:                              ;   Parent Loop BB2_55 Depth=1
                                        ;     Parent Loop BB2_569 Depth=2
                                        ; =>    This Inner Loop Header: Depth=3
	s_add_i32 s17, s17, 1
                                        ; implicit-def: $sgpr19
	s_delay_alu instid0(SALU_CYCLE_1) | instskip(SKIP_1) | instid1(SALU_CYCLE_1)
	s_cmpk_lg_i32 s17, 0x2710
	s_cselect_b32 s18, -1, 0
	s_and_b32 vcc_lo, exec_lo, s18
	s_cbranch_vccz .LBB2_812
.LBB2_809:                              ;   in Loop: Header=BB2_808 Depth=3
	s_and_not1_b32 s16, s16, exec_lo
	s_and_b32 s20, s19, exec_lo
	s_mov_b32 s19, -1
	s_or_b32 s16, s16, s20
	s_and_saveexec_b32 s20, s18
	s_cbranch_execz .LBB2_807
; %bb.810:                              ;   in Loop: Header=BB2_808 Depth=3
	s_sleep 1
	s_cbranch_execnz .LBB2_1859
; %bb.811:                              ;   in Loop: Header=BB2_808 Depth=3
	ds_load_b64 v[8:9], v0
	s_and_not1_b32 s16, s16, exec_lo
	s_waitcnt lgkmcnt(0)
	v_cmp_ge_u64_e32 vcc_lo, v[8:9], v[12:13]
	s_or_not1_b32 s19, vcc_lo, exec_lo
	s_branch .LBB2_807
.LBB2_812:                              ;   in Loop: Header=BB2_808 Depth=3
	s_cbranch_execnz .LBB2_1877
; %bb.813:                              ;   in Loop: Header=BB2_808 Depth=3
	ds_load_b64 v[8:9], v0
	s_and_not1_b32 s18, s18, exec_lo
	s_mov_b32 s17, 0
	s_mov_b32 s19, -1
	s_waitcnt lgkmcnt(0)
	s_waitcnt_vscnt null, 0x0
	flat_load_b32 v2, v[8:9] glc
	s_waitcnt vmcnt(0) lgkmcnt(0)
	buffer_gl1_inv
	buffer_gl0_inv
	v_cmp_eq_u32_e32 vcc_lo, 0, v2
	s_and_b32 s20, vcc_lo, exec_lo
	s_delay_alu instid0(SALU_CYCLE_1)
	s_or_b32 s18, s18, s20
	s_branch .LBB2_809
.LBB2_814:                              ;   in Loop: Header=BB2_569 Depth=2
	s_or_b32 exec_lo, exec_lo, s14
	s_and_saveexec_b32 s14, s15
	s_delay_alu instid0(SALU_CYCLE_1)
	s_xor_b32 s14, exec_lo, s14
	s_cbranch_execz .LBB2_816
; %bb.815:                              ;   in Loop: Header=BB2_569 Depth=2
	ds_store_b32 v0, v129
	s_cbranch_execnz .LBB2_1977
.LBB2_816:                              ;   in Loop: Header=BB2_569 Depth=2
	s_or_b32 exec_lo, exec_lo, s13
	;;#ASMSTART
	s_wakeup
	;;#ASMEND
.LBB2_817:                              ;   in Loop: Header=BB2_569 Depth=2
	s_or_b32 exec_lo, exec_lo, s10
.LBB2_818:                              ;   in Loop: Header=BB2_569 Depth=2
	s_and_not1_saveexec_b32 s3, s3
	s_cbranch_execz .LBB2_820
; %bb.819:                              ;   in Loop: Header=BB2_569 Depth=2
	;;#ASMSTART
	s_waitcnt lgkmcnt(0) vmcnt(0)
	;;#ASMEND
	s_waitcnt lgkmcnt(0)
	s_waitcnt_vscnt null, 0x0
	s_barrier
.LBB2_820:                              ;   in Loop: Header=BB2_569 Depth=2
	s_or_b32 exec_lo, exec_lo, s3
	v_and_b32_e32 v2, 16, v30
.LBB2_821:                              ;   in Loop: Header=BB2_569 Depth=2
	s_or_b32 exec_lo, exec_lo, s5
	s_delay_alu instid0(VALU_DEP_1) | instskip(SKIP_1) | instid1(SALU_CYCLE_1)
	v_cmp_ne_u32_e32 vcc_lo, 0, v2
	s_xor_b32 s3, s6, -1
	s_and_b32 s5, vcc_lo, s3
	s_delay_alu instid0(SALU_CYCLE_1)
	s_and_saveexec_b32 s3, s5
	s_cbranch_execz .LBB2_823
; %bb.822:                              ;   in Loop: Header=BB2_569 Depth=2
	s_waitcnt lgkmcnt(0)
	s_waitcnt_vscnt null, 0x0
	flat_store_b32 v[26:27], v129
.LBB2_823:                              ;   in Loop: Header=BB2_569 Depth=2
	s_or_b32 exec_lo, exec_lo, s3
	v_and_b32_e32 v2, 48, v30
	s_mov_b32 s3, exec_lo
	s_delay_alu instid0(VALU_DEP_1)
	v_cmpx_ne_u32_e32 0, v2
	s_cbranch_execz .LBB2_825
; %bb.824:                              ;   in Loop: Header=BB2_569 Depth=2
	v_add_co_u32 v22, vcc_lo, v22, 2
	v_add_co_ci_u32_e32 v23, vcc_lo, 0, v23, vcc_lo
	s_waitcnt lgkmcnt(0)
	s_waitcnt_vscnt null, 0x0
	flat_store_b64 v[20:21], v[22:23]
.LBB2_825:                              ;   in Loop: Header=BB2_569 Depth=2
	s_or_b32 exec_lo, exec_lo, s3
	v_add_nc_u32_e32 v54, v52, v54
	v_readlane_b32 s3, v42, 8
	v_readlane_b32 s15, v42, 10
	;; [unrolled: 1-line block ×4, first 2 shown]
	v_cmp_ge_i32_e32 vcc_lo, v54, v130
	s_xor_b32 s3, s3, -1
	v_readlane_b32 s16, v42, 13
	v_readlane_b32 s34, v42, 15
	;; [unrolled: 1-line block ×3, first 2 shown]
	s_or_b32 s3, s3, vcc_lo
	v_readlane_b32 s18, v42, 16
	s_and_b32 s5, exec_lo, s3
	v_readlane_b32 s3, v42, 9
	v_readlane_b32 s23, v42, 17
	;; [unrolled: 1-line block ×5, first 2 shown]
	v_mov_b32_e32 v2, s3
	v_readlane_b32 s37, v42, 21
	s_or_b32 s15, s5, s15
	s_mov_b32 s13, 0
	s_mov_b32 s10, 2
	;; [unrolled: 1-line block ×3, first 2 shown]
	s_mov_b32 s19, vcc_hi
	s_and_not1_b32 exec_lo, exec_lo, s15
	s_cbranch_execnz .LBB2_569
; %bb.826:                              ;   in Loop: Header=BB2_55 Depth=1
	s_or_b32 exec_lo, exec_lo, s15
	v_readlane_b32 s3, v42, 7
.LBB2_827:                              ;   in Loop: Header=BB2_55 Depth=1
	s_delay_alu instid0(VALU_DEP_1) | instskip(NEXT) | instid1(SALU_CYCLE_1)
	s_or_b32 exec_lo, exec_lo, s3
	s_mov_b32 s15, exec_lo
	v_cmpx_gt_i32_e32 2, v2
	s_cbranch_execz .LBB2_913
; %bb.828:                              ;   in Loop: Header=BB2_55 Depth=1
	v_cmp_eq_u32_e64 s5, 0, v2
	s_mov_b32 s3, s38
	s_mov_b32 s17, s37
	;; [unrolled: 1-line block ×6, first 2 shown]
.LBB2_829:                              ;   Parent Loop BB2_55 Depth=1
                                        ; =>  This Loop Header: Depth=2
                                        ;       Child Loop BB2_835 Depth 3
                                        ;       Child Loop BB2_867 Depth 3
	;; [unrolled: 1-line block ×3, first 2 shown]
	v_and_b32_e32 v2, 12, v30
	s_mov_b32 s13, -1
	s_mov_b32 s10, exec_lo
	s_delay_alu instid0(VALU_DEP_1)
	v_cmpx_ne_u32_e32 0, v2
	s_cbranch_execz .LBB2_843
; %bb.830:                              ;   in Loop: Header=BB2_829 Depth=2
	v_and_b32_e32 v2, 8, v30
	s_delay_alu instid0(VALU_DEP_1) | instskip(SKIP_3) | instid1(VALU_DEP_1)
	v_add_co_u32 v10, vcc_lo, v28, v2
	v_add_co_ci_u32_e32 v11, vcc_lo, 0, v29, vcc_lo
	v_add_co_u32 v8, vcc_lo, v22, 2
	v_add_co_ci_u32_e32 v9, vcc_lo, 0, v23, vcc_lo
	v_cmp_lt_u64_e32 vcc_lo, v[10:11], v[8:9]
	v_mov_b32_e32 v10, 1
	s_and_saveexec_b32 s13, vcc_lo
	s_cbranch_execz .LBB2_842
; %bb.831:                              ;   in Loop: Header=BB2_829 Depth=2
	v_mov_b32_e32 v10, 0
	s_mov_b32 s26, 0
                                        ; implicit-def: $vcc_hi
	s_branch .LBB2_835
.LBB2_832:                              ;   in Loop: Header=BB2_835 Depth=3
	s_or_b32 exec_lo, exec_lo, s39
	v_mov_b32_e32 v11, 0
	s_or_not1_b32 s38, s38, exec_lo
.LBB2_833:                              ;   in Loop: Header=BB2_835 Depth=3
	s_or_b32 exec_lo, exec_lo, s37
	s_delay_alu instid0(VALU_DEP_1) | instskip(SKIP_2) | instid1(SALU_CYCLE_1)
	v_mov_b32_e32 v10, v11
	s_and_not1_b32 vcc_lo, vcc_hi, exec_lo
	s_and_b32 vcc_hi, s38, exec_lo
	s_or_b32 vcc_hi, vcc_lo, vcc_hi
.LBB2_834:                              ;   in Loop: Header=BB2_835 Depth=3
	s_or_b32 exec_lo, exec_lo, s36
	s_waitcnt vmcnt(0) lgkmcnt(0)
	v_add_co_u32 v64, vcc_lo, v28, v2
	v_add_co_ci_u32_e32 v65, vcc_lo, 0, v29, vcc_lo
	s_delay_alu instid0(VALU_DEP_1) | instskip(SKIP_1) | instid1(SALU_CYCLE_1)
	v_cmp_ge_u64_e32 vcc_lo, v[64:65], v[8:9]
	s_xor_b32 s36, vcc_hi, -1
	s_or_b32 vcc_lo, s36, vcc_lo
	s_delay_alu instid0(SALU_CYCLE_1) | instskip(NEXT) | instid1(SALU_CYCLE_1)
	s_and_b32 vcc_lo, exec_lo, vcc_lo
	s_or_b32 s26, vcc_lo, s26
	s_delay_alu instid0(SALU_CYCLE_1)
	s_and_not1_b32 exec_lo, exec_lo, s26
	s_cbranch_execz .LBB2_841
.LBB2_835:                              ;   Parent Loop BB2_55 Depth=1
                                        ;     Parent Loop BB2_829 Depth=2
                                        ; =>    This Inner Loop Header: Depth=3
	s_sleep 1
	flat_load_b64 v[28:29], v[20:21] glc
	v_and_b32_e32 v11, 64, v30
	s_and_not1_b32 vcc_hi, vcc_hi, exec_lo
	s_mov_b32 s36, exec_lo
	s_delay_alu instid0(VALU_DEP_1)
	v_cmpx_eq_u32_e32 0, v11
	s_cbranch_execz .LBB2_834
; %bb.836:                              ;   in Loop: Header=BB2_835 Depth=3
	v_add_nc_u32_e32 v11, 1, v10
	s_mov_b32 s38, -1
	s_mov_b32 s37, exec_lo
	v_cmpx_lt_i32_e32 0x270e, v10
	s_cbranch_execz .LBB2_833
; %bb.837:                              ;   in Loop: Header=BB2_835 Depth=3
	s_cbranch_execnz .LBB2_1573
; %bb.838:                              ;   in Loop: Header=BB2_835 Depth=3
	ds_load_b64 v[10:11], v0
	s_mov_b32 s39, exec_lo
	s_waitcnt vmcnt(0) lgkmcnt(0)
	s_waitcnt_vscnt null, 0x0
	flat_load_b32 v10, v[10:11] glc
	s_waitcnt vmcnt(0) lgkmcnt(0)
	buffer_gl1_inv
	buffer_gl0_inv
	v_cmpx_ne_u32_e32 0, v10
	s_cbranch_execz .LBB2_832
; %bb.839:                              ;   in Loop: Header=BB2_835 Depth=3
	ds_store_b32 v0, v10
	s_cbranch_execnz .LBB2_1627
; %bb.840:                              ;   in Loop: Header=BB2_835 Depth=3
	v_or_b32_e32 v30, 64, v30
	s_xor_b32 s38, exec_lo, -1
	s_branch .LBB2_832
.LBB2_841:                              ;   in Loop: Header=BB2_829 Depth=2
	s_or_b32 exec_lo, exec_lo, s26
	v_and_b32_e32 v10, 12, v30
.LBB2_842:                              ;   in Loop: Header=BB2_829 Depth=2
	s_or_b32 exec_lo, exec_lo, s13
	s_delay_alu instid0(VALU_DEP_1)
	v_cmp_eq_u32_e32 vcc_lo, 0, v10
	;;#ASMSTART
	s_wakeup
	;;#ASMEND
	s_or_not1_b32 s13, vcc_lo, exec_lo
.LBB2_843:                              ;   in Loop: Header=BB2_829 Depth=2
	s_or_b32 exec_lo, exec_lo, s10
	v_sub_nc_u32_e32 v2, v130, v54
	s_xor_b32 s5, s5, -1
	s_delay_alu instid0(SALU_CYCLE_1) | instskip(NEXT) | instid1(SALU_CYCLE_1)
	s_and_b32 s5, exec_lo, s5
	s_or_b32 s22, s5, s22
	s_delay_alu instid0(VALU_DEP_1) | instskip(SKIP_1) | instid1(SALU_CYCLE_1)
	v_min_i32_e32 v52, v52, v2
	s_xor_b32 s10, s13, -1
	s_and_saveexec_b32 s5, s10
	s_cbranch_execz .LBB2_858
; %bb.844:                              ;   in Loop: Header=BB2_829 Depth=2
	v_and_b32_e32 v2, 0x108, v30
	s_mov_b32 s10, exec_lo
	s_delay_alu instid0(VALU_DEP_1)
	v_cmpx_ne_u32_e32 0x108, v2
	s_xor_b32 s10, exec_lo, s10
                                        ; implicit-def: $vgpr8_vgpr9
; %bb.845:                              ;   in Loop: Header=BB2_829 Depth=2
	v_and_b32_e32 v8, 7, v22
; %bb.846:                              ;   in Loop: Header=BB2_829 Depth=2
	s_and_not1_saveexec_b32 s10, s10
	s_cbranch_execz .LBB2_848
; %bb.847:                              ;   in Loop: Header=BB2_829 Depth=2
	v_and_b32_e32 v8, 7, v22
	v_ashrrev_i32_e32 v53, 31, v52
	s_delay_alu instid0(VALU_DEP_2) | instskip(NEXT) | instid1(VALU_DEP_2)
	v_mad_u64_u32 v[9:10], null, v8, 24, v[6:7]
	v_lshlrev_b64 v[64:65], 3, v[52:53]
	flat_store_b64 v[9:10], v[64:65] offset:8
.LBB2_848:                              ;   in Loop: Header=BB2_829 Depth=2
	s_or_b32 exec_lo, exec_lo, s10
	v_and_b32_e32 v2, 0x100, v30
	s_mov_b32 s13, -1
	s_mov_b32 s10, exec_lo
                                        ; implicit-def: $vgpr9_vgpr10
	s_delay_alu instid0(VALU_DEP_1)
	v_cmpx_ne_u32_e32 0, v2
	s_cbranch_execz .LBB2_853
; %bb.849:                              ;   in Loop: Header=BB2_829 Depth=2
	v_mad_u64_u32 v[64:65], null, v8, 24, v[6:7]
	s_mov_b32 s26, exec_lo
	s_delay_alu instid0(VALU_DEP_1) | instskip(NEXT) | instid1(VALU_DEP_1)
	v_mov_b32_e32 v2, v65
	v_mad_u64_u32 v[9:10], null, v3, 24, v[2:3]
	s_delay_alu instid0(VALU_DEP_1)
	v_mov_b32_e32 v65, v9
                                        ; implicit-def: $vgpr9_vgpr10
	flat_load_b32 v2, v[64:65]
	s_waitcnt vmcnt(0) lgkmcnt(0)
	v_cmp_ne_u32_e32 vcc_lo, 1, v2
	v_cmpx_eq_u32_e32 1, v2
	s_cbranch_execz .LBB2_851
; %bb.850:                              ;   in Loop: Header=BB2_829 Depth=2
	flat_load_b32 v9, v[64:65] offset:4 glc
	s_waitcnt vmcnt(0) lgkmcnt(0)
	v_ashrrev_i32_e32 v10, 31, v9
	s_delay_alu instid0(VALU_DEP_1)
	v_lshrrev_b64 v[9:10], 3, v[9:10]
.LBB2_851:                              ;   in Loop: Header=BB2_829 Depth=2
	s_or_b32 exec_lo, exec_lo, s26
	s_delay_alu instid0(SALU_CYCLE_1)
	s_or_not1_b32 s13, vcc_lo, exec_lo
	s_or_b32 exec_lo, exec_lo, s10
	s_and_saveexec_b32 s10, s13
	s_cbranch_execnz .LBB2_854
.LBB2_852:                              ;   in Loop: Header=BB2_829 Depth=2
	s_or_b32 exec_lo, exec_lo, s10
	s_cbranch_execz .LBB2_855
	s_branch .LBB2_1569
.LBB2_853:                              ;   in Loop: Header=BB2_829 Depth=2
	s_or_b32 exec_lo, exec_lo, s10
	s_and_saveexec_b32 s10, s13
	s_cbranch_execz .LBB2_852
.LBB2_854:                              ;   in Loop: Header=BB2_829 Depth=2
	v_mul_lo_u32 v2, v3, v86
	v_mul_lo_u32 v11, v8, v87
	v_mad_u64_u32 v[9:10], null, v8, v86, 0
	s_delay_alu instid0(VALU_DEP_1)
	v_add3_u32 v10, v10, v11, v2
	s_or_b32 exec_lo, exec_lo, s10
	s_cbranch_execnz .LBB2_1569
.LBB2_855:                              ;   in Loop: Header=BB2_829 Depth=2
	s_delay_alu instid0(VALU_DEP_1) | instskip(SKIP_2) | instid1(VALU_DEP_2)
	v_lshlrev_b64 v[8:9], 3, v[9:10]
	v_and_b32_e32 v2, 0x2000, v30
	s_mov_b32 s10, exec_lo
	v_add_co_u32 v8, vcc_lo, v24, v8
	s_delay_alu instid0(VALU_DEP_3)
	v_add_co_ci_u32_e32 v9, vcc_lo, v25, v9, vcc_lo
	ds_store_b64 v0, v[8:9]
	v_cmpx_ne_u32_e32 0, v2
	s_cbranch_execz .LBB2_857
; %bb.856:                              ;   in Loop: Header=BB2_829 Depth=2
	ds_load_b64 v[8:9], v0 offset:584
	s_waitcnt lgkmcnt(0)
	v_add_co_u32 v8, vcc_lo, v8, 1
	v_add_co_ci_u32_e32 v9, vcc_lo, 0, v9, vcc_lo
	ds_store_b64 v0, v[8:9] offset:584
.LBB2_857:                              ;   in Loop: Header=BB2_829 Depth=2
	s_or_b32 exec_lo, exec_lo, s10
	v_add_co_u32 v22, vcc_lo, v22, 2
	v_add_co_ci_u32_e32 v23, vcc_lo, 0, v23, vcc_lo
.LBB2_858:                              ;   in Loop: Header=BB2_829 Depth=2
	s_or_b32 exec_lo, exec_lo, s5
	s_and_saveexec_b32 s5, s3
	s_cbranch_execz .LBB2_880
; %bb.859:                              ;   in Loop: Header=BB2_829 Depth=2
	s_and_saveexec_b32 s10, s4
	s_delay_alu instid0(SALU_CYCLE_1)
	s_xor_b32 s10, exec_lo, s10
	s_cbranch_execz .LBB2_877
; %bb.860:                              ;   in Loop: Header=BB2_829 Depth=2
	s_and_saveexec_b32 s13, s1
	s_cbranch_execz .LBB2_876
; %bb.861:                              ;   in Loop: Header=BB2_829 Depth=2
	s_mov_b32 vcc_hi, exec_lo
	s_mov_b32 s26, exec_lo
	v_mbcnt_lo_u32_b32 v2, vcc_hi, 0
	s_waitcnt lgkmcnt(0)
	s_waitcnt_vscnt null, 0x0
	buffer_gl1_inv
	buffer_gl0_inv
	v_cmpx_eq_u32_e32 0, v2
	s_cbranch_execz .LBB2_863
; %bb.862:                              ;   in Loop: Header=BB2_829 Depth=2
	s_bcnt1_i32_b32 vcc_lo, vcc_hi
	s_delay_alu instid0(SALU_CYCLE_1)
	v_mov_b32_e32 v2, vcc_lo
	ds_add_u64 v0, v[2:3]
	s_cbranch_execnz .LBB2_1683
.LBB2_863:                              ;   in Loop: Header=BB2_829 Depth=2
	s_or_b32 exec_lo, exec_lo, s26
	s_cbranch_execnz .LBB2_1657
; %bb.864:                              ;   in Loop: Header=BB2_829 Depth=2
	ds_load_b64 v[8:9], v0
	v_add_co_u32 v12, vcc_lo, v12, v96
	v_add_co_ci_u32_e32 v13, vcc_lo, 0, v13, vcc_lo
	s_mov_b32 s26, exec_lo
	s_waitcnt lgkmcnt(0)
	s_delay_alu instid0(VALU_DEP_1)
	v_cmpx_lt_u64_e64 v[8:9], v[12:13]
	s_cbranch_execz .LBB2_875
; %bb.865:                              ;   in Loop: Header=BB2_829 Depth=2
	s_mov_b32 vcc_hi, 0
	s_mov_b32 s38, 0
                                        ; implicit-def: $sgpr36
                                        ; implicit-def: $sgpr37
	s_branch .LBB2_867
.LBB2_866:                              ;   in Loop: Header=BB2_867 Depth=3
	s_or_b32 exec_lo, exec_lo, s40
	s_delay_alu instid0(SALU_CYCLE_1) | instskip(NEXT) | instid1(SALU_CYCLE_1)
	s_and_b32 vcc_lo, exec_lo, vcc_lo
	s_or_b32 vcc_hi, vcc_lo, vcc_hi
	s_and_not1_b32 vcc_lo, s36, exec_lo
	s_and_b32 s36, s37, exec_lo
	s_delay_alu instid0(SALU_CYCLE_1)
	s_or_b32 s36, vcc_lo, s36
	s_and_not1_b32 exec_lo, exec_lo, vcc_hi
	s_cbranch_execz .LBB2_873
.LBB2_867:                              ;   Parent Loop BB2_55 Depth=1
                                        ;     Parent Loop BB2_829 Depth=2
                                        ; =>    This Inner Loop Header: Depth=3
	s_add_i32 s38, s38, 1
                                        ; implicit-def: $sgpr40
	s_delay_alu instid0(SALU_CYCLE_1) | instskip(SKIP_1) | instid1(SALU_CYCLE_1)
	s_cmpk_lg_i32 s38, 0x2710
	s_cselect_b32 s39, -1, 0
	s_and_b32 vcc_lo, exec_lo, s39
	s_cbranch_vccz .LBB2_871
.LBB2_868:                              ;   in Loop: Header=BB2_867 Depth=3
	s_and_not1_b32 s37, s37, exec_lo
	s_and_b32 s40, s40, exec_lo
	s_mov_b32 vcc_lo, -1
	s_or_b32 s37, s37, s40
	s_and_saveexec_b32 s40, s39
	s_cbranch_execz .LBB2_866
; %bb.869:                              ;   in Loop: Header=BB2_867 Depth=3
	s_sleep 1
	s_cbranch_execnz .LBB2_1731
; %bb.870:                              ;   in Loop: Header=BB2_867 Depth=3
	ds_load_b64 v[8:9], v0
	s_and_not1_b32 s37, s37, exec_lo
	s_waitcnt lgkmcnt(0)
	v_cmp_ge_u64_e32 vcc_lo, v[8:9], v[12:13]
	s_or_not1_b32 vcc_lo, vcc_lo, exec_lo
	s_branch .LBB2_866
.LBB2_871:                              ;   in Loop: Header=BB2_867 Depth=3
	s_cbranch_execnz .LBB2_1747
; %bb.872:                              ;   in Loop: Header=BB2_867 Depth=3
	ds_load_b64 v[8:9], v0
	s_and_not1_b32 s39, s39, exec_lo
	s_mov_b32 s38, 0
	s_mov_b32 s40, -1
	s_waitcnt lgkmcnt(0)
	flat_load_b32 v2, v[8:9] glc
	s_waitcnt vmcnt(0) lgkmcnt(0)
	buffer_gl1_inv
	buffer_gl0_inv
	v_cmp_eq_u32_e32 vcc_lo, 0, v2
	s_and_b32 vcc_lo, vcc_lo, exec_lo
	s_delay_alu instid0(SALU_CYCLE_1)
	s_or_b32 s39, s39, vcc_lo
	s_branch .LBB2_868
.LBB2_873:                              ;   in Loop: Header=BB2_829 Depth=2
	s_or_b32 exec_lo, exec_lo, vcc_hi
	s_and_saveexec_b32 vcc_lo, s36
	s_delay_alu instid0(SALU_CYCLE_1)
	s_xor_b32 vcc_lo, exec_lo, vcc_lo
	s_cbranch_execz .LBB2_875
; %bb.874:                              ;   in Loop: Header=BB2_829 Depth=2
	ds_store_b32 v0, v129
	s_cbranch_execnz .LBB2_1937
.LBB2_875:                              ;   in Loop: Header=BB2_829 Depth=2
	s_or_b32 exec_lo, exec_lo, s26
	;;#ASMSTART
	s_wakeup
	;;#ASMEND
.LBB2_876:                              ;   in Loop: Header=BB2_829 Depth=2
	s_or_b32 exec_lo, exec_lo, s13
.LBB2_877:                              ;   in Loop: Header=BB2_829 Depth=2
	s_and_not1_saveexec_b32 s10, s10
	s_cbranch_execz .LBB2_879
; %bb.878:                              ;   in Loop: Header=BB2_829 Depth=2
	s_waitcnt lgkmcnt(0)
	s_waitcnt_vscnt null, 0x0
	buffer_gl1_inv
	buffer_gl0_inv
	s_barrier
.LBB2_879:                              ;   in Loop: Header=BB2_829 Depth=2
	s_or_b32 exec_lo, exec_lo, s10
.LBB2_880:                              ;   in Loop: Header=BB2_829 Depth=2
	s_delay_alu instid0(SALU_CYCLE_1) | instskip(SKIP_1) | instid1(SALU_CYCLE_1)
	s_or_b32 exec_lo, exec_lo, s5
                                        ; implicit-def: $vgpr2
	s_and_saveexec_b32 s5, s7
	s_xor_b32 s5, exec_lo, s5
	s_cbranch_execz .LBB2_885
; %bb.881:                              ;   in Loop: Header=BB2_829 Depth=2
	s_cbranch_execnz .LBB2_1583
; %bb.882:                              ;   in Loop: Header=BB2_829 Depth=2
	ds_load_b32 v2, v0
	v_cmp_lt_i32_e32 vcc_lo, 0, v52
	s_waitcnt lgkmcnt(0)
	v_readfirstlane_b32 s10, v2
	v_and_b32_e32 v2, 16, v30
	s_delay_alu instid0(VALU_DEP_2) | instskip(NEXT) | instid1(VALU_DEP_1)
	s_cmp_eq_u32 s10, 0
	v_cmp_ne_u32_e64 s13, 0, v2
	s_cselect_b32 s10, -1, 0
	v_and_b32_e32 v2, 16, v30
	s_and_b32 s10, vcc_lo, s10
	s_delay_alu instid0(VALU_DEP_2) | instid1(SALU_CYCLE_1)
	s_and_b32 s13, s13, s10
	s_delay_alu instid0(SALU_CYCLE_1)
	s_and_saveexec_b32 s10, s13
	s_cbranch_execz .LBB2_884
; %bb.883:                              ;   in Loop: Header=BB2_829 Depth=2
	v_mov_b32_e32 v2, 1
	s_waitcnt_vscnt null, 0x0
	buffer_gl1_inv
	buffer_gl0_inv
.LBB2_884:                              ;   in Loop: Header=BB2_829 Depth=2
	s_or_b32 exec_lo, exec_lo, s10
.LBB2_885:                              ;   in Loop: Header=BB2_829 Depth=2
	s_and_not1_saveexec_b32 s5, s5
	s_cbranch_execz .LBB2_907
; %bb.886:                              ;   in Loop: Header=BB2_829 Depth=2
	s_and_saveexec_b32 s10, s4
	s_delay_alu instid0(SALU_CYCLE_1)
	s_xor_b32 s10, exec_lo, s10
	s_cbranch_execz .LBB2_904
; %bb.887:                              ;   in Loop: Header=BB2_829 Depth=2
	s_and_saveexec_b32 s13, s1
	s_cbranch_execz .LBB2_903
; %bb.888:                              ;   in Loop: Header=BB2_829 Depth=2
	s_mov_b32 vcc_hi, exec_lo
	s_mov_b32 s26, exec_lo
	v_mbcnt_lo_u32_b32 v2, vcc_hi, 0
	;;#ASMSTART
	s_waitcnt lgkmcnt(0) vmcnt(0)
	;;#ASMEND
	s_delay_alu instid0(VALU_DEP_1)
	v_cmpx_eq_u32_e32 0, v2
	s_cbranch_execz .LBB2_890
; %bb.889:                              ;   in Loop: Header=BB2_829 Depth=2
	s_bcnt1_i32_b32 vcc_lo, vcc_hi
	s_delay_alu instid0(SALU_CYCLE_1)
	v_mov_b32_e32 v2, vcc_lo
	ds_add_u64 v0, v[2:3]
	s_cbranch_execnz .LBB2_1693
.LBB2_890:                              ;   in Loop: Header=BB2_829 Depth=2
	s_or_b32 exec_lo, exec_lo, s26
	s_cbranch_execnz .LBB2_1681
; %bb.891:                              ;   in Loop: Header=BB2_829 Depth=2
	ds_load_b64 v[8:9], v0
	v_add_co_u32 v12, vcc_lo, v12, v96
	v_add_co_ci_u32_e32 v13, vcc_lo, 0, v13, vcc_lo
	s_mov_b32 s26, exec_lo
	s_waitcnt lgkmcnt(0)
	s_delay_alu instid0(VALU_DEP_1)
	v_cmpx_lt_u64_e64 v[8:9], v[12:13]
	s_cbranch_execz .LBB2_902
; %bb.892:                              ;   in Loop: Header=BB2_829 Depth=2
	s_mov_b32 vcc_hi, 0
	s_mov_b32 s38, 0
                                        ; implicit-def: $sgpr36
                                        ; implicit-def: $sgpr37
	s_branch .LBB2_894
.LBB2_893:                              ;   in Loop: Header=BB2_894 Depth=3
	s_or_b32 exec_lo, exec_lo, s40
	s_delay_alu instid0(SALU_CYCLE_1) | instskip(NEXT) | instid1(SALU_CYCLE_1)
	s_and_b32 vcc_lo, exec_lo, vcc_lo
	s_or_b32 vcc_hi, vcc_lo, vcc_hi
	s_and_not1_b32 vcc_lo, s36, exec_lo
	s_and_b32 s36, s37, exec_lo
	s_delay_alu instid0(SALU_CYCLE_1)
	s_or_b32 s36, vcc_lo, s36
	s_and_not1_b32 exec_lo, exec_lo, vcc_hi
	s_cbranch_execz .LBB2_900
.LBB2_894:                              ;   Parent Loop BB2_55 Depth=1
                                        ;     Parent Loop BB2_829 Depth=2
                                        ; =>    This Inner Loop Header: Depth=3
	s_add_i32 s38, s38, 1
                                        ; implicit-def: $sgpr40
	s_delay_alu instid0(SALU_CYCLE_1) | instskip(SKIP_1) | instid1(SALU_CYCLE_1)
	s_cmpk_lg_i32 s38, 0x2710
	s_cselect_b32 s39, -1, 0
	s_and_b32 vcc_lo, exec_lo, s39
	s_cbranch_vccz .LBB2_898
.LBB2_895:                              ;   in Loop: Header=BB2_894 Depth=3
	s_and_not1_b32 s37, s37, exec_lo
	s_and_b32 s40, s40, exec_lo
	s_mov_b32 vcc_lo, -1
	s_or_b32 s37, s37, s40
	s_and_saveexec_b32 s40, s39
	s_cbranch_execz .LBB2_893
; %bb.896:                              ;   in Loop: Header=BB2_894 Depth=3
	s_sleep 1
	s_cbranch_execnz .LBB2_1755
; %bb.897:                              ;   in Loop: Header=BB2_894 Depth=3
	ds_load_b64 v[8:9], v0
	s_and_not1_b32 s37, s37, exec_lo
	s_waitcnt lgkmcnt(0)
	v_cmp_ge_u64_e32 vcc_lo, v[8:9], v[12:13]
	s_or_not1_b32 vcc_lo, vcc_lo, exec_lo
	s_branch .LBB2_893
.LBB2_898:                              ;   in Loop: Header=BB2_894 Depth=3
	s_cbranch_execnz .LBB2_1767
; %bb.899:                              ;   in Loop: Header=BB2_894 Depth=3
	ds_load_b64 v[8:9], v0
	s_and_not1_b32 s39, s39, exec_lo
	s_mov_b32 s38, 0
	s_mov_b32 s40, -1
	s_waitcnt lgkmcnt(0)
	s_waitcnt_vscnt null, 0x0
	flat_load_b32 v2, v[8:9] glc
	s_waitcnt vmcnt(0) lgkmcnt(0)
	buffer_gl1_inv
	buffer_gl0_inv
	v_cmp_eq_u32_e32 vcc_lo, 0, v2
	s_and_b32 vcc_lo, vcc_lo, exec_lo
	s_delay_alu instid0(SALU_CYCLE_1)
	s_or_b32 s39, s39, vcc_lo
	s_branch .LBB2_895
.LBB2_900:                              ;   in Loop: Header=BB2_829 Depth=2
	s_or_b32 exec_lo, exec_lo, vcc_hi
	s_and_saveexec_b32 vcc_lo, s36
	s_delay_alu instid0(SALU_CYCLE_1)
	s_xor_b32 vcc_lo, exec_lo, vcc_lo
	s_cbranch_execz .LBB2_902
; %bb.901:                              ;   in Loop: Header=BB2_829 Depth=2
	ds_store_b32 v0, v129
	s_cbranch_execnz .LBB2_1949
.LBB2_902:                              ;   in Loop: Header=BB2_829 Depth=2
	s_or_b32 exec_lo, exec_lo, s26
	;;#ASMSTART
	s_wakeup
	;;#ASMEND
.LBB2_903:                              ;   in Loop: Header=BB2_829 Depth=2
	s_or_b32 exec_lo, exec_lo, s13
.LBB2_904:                              ;   in Loop: Header=BB2_829 Depth=2
	s_and_not1_saveexec_b32 s10, s10
	s_cbranch_execz .LBB2_906
; %bb.905:                              ;   in Loop: Header=BB2_829 Depth=2
	;;#ASMSTART
	s_waitcnt lgkmcnt(0) vmcnt(0)
	;;#ASMEND
	s_waitcnt lgkmcnt(0)
	s_waitcnt_vscnt null, 0x0
	s_barrier
.LBB2_906:                              ;   in Loop: Header=BB2_829 Depth=2
	s_or_b32 exec_lo, exec_lo, s10
	v_and_b32_e32 v2, 16, v30
.LBB2_907:                              ;   in Loop: Header=BB2_829 Depth=2
	s_or_b32 exec_lo, exec_lo, s5
	s_delay_alu instid0(VALU_DEP_1) | instskip(SKIP_1) | instid1(SALU_CYCLE_1)
	v_cmp_ne_u32_e32 vcc_lo, 0, v2
	s_xor_b32 s5, s6, -1
	s_and_b32 s10, vcc_lo, s5
	s_delay_alu instid0(SALU_CYCLE_1)
	s_and_saveexec_b32 s5, s10
	s_cbranch_execz .LBB2_909
; %bb.908:                              ;   in Loop: Header=BB2_829 Depth=2
	s_waitcnt lgkmcnt(0)
	s_waitcnt_vscnt null, 0x0
	flat_store_b32 v[26:27], v129
.LBB2_909:                              ;   in Loop: Header=BB2_829 Depth=2
	s_or_b32 exec_lo, exec_lo, s5
	v_and_b32_e32 v2, 48, v30
	s_mov_b32 s5, exec_lo
	s_delay_alu instid0(VALU_DEP_1)
	v_cmpx_ne_u32_e32 0, v2
	s_cbranch_execz .LBB2_911
; %bb.910:                              ;   in Loop: Header=BB2_829 Depth=2
	v_add_co_u32 v22, vcc_lo, v22, 2
	v_add_co_ci_u32_e32 v23, vcc_lo, 0, v23, vcc_lo
	s_waitcnt lgkmcnt(0)
	s_waitcnt_vscnt null, 0x0
	flat_store_b64 v[20:21], v[22:23]
.LBB2_911:                              ;   in Loop: Header=BB2_829 Depth=2
	s_or_b32 exec_lo, exec_lo, s5
	v_add_nc_u32_e32 v54, v52, v54
	s_mov_b32 s5, 0
	s_and_not1_b32 exec_lo, exec_lo, s22
	s_cbranch_execnz .LBB2_829
; %bb.912:                              ;   in Loop: Header=BB2_55 Depth=1
	s_or_b32 exec_lo, exec_lo, s22
	s_mov_b32 s22, s14
	s_mov_b32 s14, s12
	;; [unrolled: 1-line block ×5, first 2 shown]
.LBB2_913:                              ;   in Loop: Header=BB2_55 Depth=1
	v_writelane_b32 v42, s36, 20
	v_writelane_b32 v42, s30, 11
	;; [unrolled: 1-line block ×5, first 2 shown]
	s_or_b32 exec_lo, exec_lo, s15
	s_mov_b32 s13, s22
	s_mov_b32 s3, s38
	;; [unrolled: 1-line block ×7, first 2 shown]
	s_and_not1_b32 vcc_lo, exec_lo, s34
	v_writelane_b32 v42, s34, 15
	s_cbranch_vccnz .LBB2_1211
; %bb.914:                              ;   in Loop: Header=BB2_55 Depth=1
	s_mov_b32 s5, 1
.LBB2_915:                              ;   Parent Loop BB2_55 Depth=1
                                        ; =>  This Loop Header: Depth=2
                                        ;       Child Loop BB2_917 Depth 3
                                        ;         Child Loop BB2_926 Depth 4
                                        ;         Child Loop BB2_956 Depth 4
	;; [unrolled: 1-line block ×4, first 2 shown]
                                        ;           Child Loop BB2_1005 Depth 5
                                        ;         Child Loop BB2_1012 Depth 4
                                        ;           Child Loop BB2_1013 Depth 5
                                        ;         Child Loop BB2_1024 Depth 4
	;; [unrolled: 2-line block ×4, first 2 shown]
                                        ;         Child Loop BB2_1053 Depth 4
                                        ;         Child Loop BB2_1063 Depth 4
	;; [unrolled: 1-line block ×5, first 2 shown]
                                        ;       Child Loop BB2_1128 Depth 3
                                        ;         Child Loop BB2_1134 Depth 4
                                        ;         Child Loop BB2_1164 Depth 4
	;; [unrolled: 1-line block ×3, first 2 shown]
	s_delay_alu instid0(SALU_CYCLE_1)
	s_mov_b32 s21, s5
	s_sub_i32 s5, s19, s5
	v_mov_b32_e32 v54, 0
	s_cmp_le_i32 s25, s5
	s_mov_b32 s31, 0
	s_cselect_b32 s11, s25, 0
	s_delay_alu instid0(SALU_CYCLE_1) | instskip(NEXT) | instid1(SALU_CYCLE_1)
	s_sub_i32 s5, s5, s11
	s_ashr_i32 s11, s5, 31
	v_mul_lo_u32 v2, v39, s5
	v_mad_u64_u32 v[8:9], null, v38, s5, 0
	v_mul_lo_u32 v10, v38, s11
	s_delay_alu instid0(VALU_DEP_1) | instskip(NEXT) | instid1(VALU_DEP_3)
	v_add3_u32 v9, v9, v10, v2
	v_sub_co_u32 v10, vcc_lo, v48, v8
	s_delay_alu instid0(VALU_DEP_2) | instskip(NEXT) | instid1(VALU_DEP_1)
	v_sub_co_ci_u32_e32 v11, vcc_lo, v49, v9, vcc_lo
	v_cmp_lt_i64_e32 vcc_lo, v[38:39], v[10:11]
	v_cndmask_b32_e32 v10, v10, v38, vcc_lo
	s_delay_alu instid0(VALU_DEP_1) | instskip(SKIP_1) | instid1(VALU_DEP_2)
	v_max_i32_e32 v68, 0, v10
	v_cmp_lt_i32_e32 vcc_lo, 0, v10
	v_add_nc_u32_e32 v2, 31, v68
	s_and_b32 s5, s22, vcc_lo
	s_delay_alu instid0(VALU_DEP_1) | instskip(NEXT) | instid1(VALU_DEP_1)
	v_lshrrev_b32_e32 v2, 1, v2
	v_dual_mov_b32 v2, 0 :: v_dual_and_b32 v11, 0x3ffffff0, v2
	s_delay_alu instid0(VALU_DEP_1)
	v_max_i32_e32 v52, s16, v11
	s_and_saveexec_b32 s30, s5
	s_cbranch_execz .LBB2_1126
; %bb.916:                              ;   in Loop: Header=BB2_915 Depth=2
	v_add_co_u32 v8, vcc_lo, v8, v50
	v_add_co_ci_u32_e32 v9, vcc_lo, v9, v51, vcc_lo
	v_mov_b32_e32 v54, 0
	s_mov_b32 s35, 1
	s_mov_b32 s34, -1
	s_delay_alu instid0(VALU_DEP_2)
	v_lshlrev_b64 v[64:65], 3, v[8:9]
.LBB2_917:                              ;   Parent Loop BB2_55 Depth=1
                                        ;     Parent Loop BB2_915 Depth=2
                                        ; =>    This Loop Header: Depth=3
                                        ;         Child Loop BB2_926 Depth 4
                                        ;         Child Loop BB2_956 Depth 4
	;; [unrolled: 1-line block ×4, first 2 shown]
                                        ;           Child Loop BB2_1005 Depth 5
                                        ;         Child Loop BB2_1012 Depth 4
                                        ;           Child Loop BB2_1013 Depth 5
                                        ;         Child Loop BB2_1024 Depth 4
	;; [unrolled: 2-line block ×4, first 2 shown]
                                        ;         Child Loop BB2_1053 Depth 4
                                        ;         Child Loop BB2_1063 Depth 4
	;; [unrolled: 1-line block ×5, first 2 shown]
	s_and_saveexec_b32 s5, s0
	s_cbranch_execz .LBB2_920
; %bb.918:                              ;   in Loop: Header=BB2_917 Depth=3
	s_cbranch_execnz .LBB2_1609
; %bb.919:                              ;   in Loop: Header=BB2_917 Depth=3
	ds_load_b128 v[8:11], v0
	v_ashrrev_i32_e32 v55, 31, v54
	s_delay_alu instid0(VALU_DEP_1)
	v_lshlrev_b64 v[66:67], 3, v[54:55]
	s_waitcnt lgkmcnt(0)
	v_add_co_u32 v2, vcc_lo, v10, v64
	v_add_co_ci_u32_e32 v53, vcc_lo, v11, v65, vcc_lo
	v_add_co_u32 v8, vcc_lo, v8, v64
	v_add_co_ci_u32_e32 v9, vcc_lo, v9, v65, vcc_lo
	s_delay_alu instid0(VALU_DEP_4) | instskip(NEXT) | instid1(VALU_DEP_4)
	v_add_co_u32 v2, vcc_lo, v2, v66
	v_add_co_ci_u32_e32 v53, vcc_lo, v53, v67, vcc_lo
	v_cmp_ne_u64_e32 vcc_lo, 0, v[10:11]
	v_add_co_u32 v8, s13, v8, v66
	s_delay_alu instid0(VALU_DEP_1) | instskip(NEXT) | instid1(VALU_DEP_4)
	v_add_co_ci_u32_e64 v9, s13, v9, v67, s13
	v_dual_cndmask_b32 v11, 0, v53 :: v_dual_cndmask_b32 v10, 0, v2
	ds_store_b64 v0, v[8:9]
	ds_store_b64 v0, v[10:11]
.LBB2_920:                              ;   in Loop: Header=BB2_917 Depth=3
	s_or_b32 exec_lo, exec_lo, s5
	v_and_b32_e32 v2, 12, v30
	s_mov_b32 s11, -1
	s_mov_b32 s5, exec_lo
	s_delay_alu instid0(VALU_DEP_1)
	v_cmpx_ne_u32_e32 0, v2
	s_cbranch_execz .LBB2_934
; %bb.921:                              ;   in Loop: Header=BB2_917 Depth=3
	v_and_b32_e32 v2, 8, v30
	s_delay_alu instid0(VALU_DEP_1) | instskip(SKIP_3) | instid1(VALU_DEP_1)
	v_add_co_u32 v10, vcc_lo, v28, v2
	v_add_co_ci_u32_e32 v11, vcc_lo, 0, v29, vcc_lo
	v_add_co_u32 v8, vcc_lo, v22, 2
	v_add_co_ci_u32_e32 v9, vcc_lo, 0, v23, vcc_lo
	v_cmp_lt_u64_e32 vcc_lo, v[10:11], v[8:9]
	v_mov_b32_e32 v10, 1
	s_and_saveexec_b32 s11, vcc_lo
	s_cbranch_execz .LBB2_933
; %bb.922:                              ;   in Loop: Header=BB2_917 Depth=3
	v_mov_b32_e32 v10, 0
	s_mov_b32 s13, 0
                                        ; implicit-def: $sgpr14
	s_branch .LBB2_926
.LBB2_923:                              ;   in Loop: Header=BB2_926 Depth=4
	s_or_b32 exec_lo, exec_lo, vcc_hi
	v_mov_b32_e32 v11, 0
	s_or_not1_b32 s26, s26, exec_lo
.LBB2_924:                              ;   in Loop: Header=BB2_926 Depth=4
	s_or_b32 exec_lo, exec_lo, s17
	s_delay_alu instid0(VALU_DEP_1) | instskip(SKIP_2) | instid1(SALU_CYCLE_1)
	v_mov_b32_e32 v10, v11
	s_and_not1_b32 s14, s14, exec_lo
	s_and_b32 s17, s26, exec_lo
	s_or_b32 s14, s14, s17
.LBB2_925:                              ;   in Loop: Header=BB2_926 Depth=4
	s_or_b32 exec_lo, exec_lo, s15
	s_waitcnt vmcnt(0) lgkmcnt(0)
	v_add_co_u32 v66, vcc_lo, v28, v2
	v_add_co_ci_u32_e32 v67, vcc_lo, 0, v29, vcc_lo
	s_xor_b32 s15, s14, -1
	s_delay_alu instid0(VALU_DEP_1) | instskip(SKIP_1) | instid1(SALU_CYCLE_1)
	v_cmp_ge_u64_e32 vcc_lo, v[66:67], v[8:9]
	s_or_b32 s15, s15, vcc_lo
	s_and_b32 s15, exec_lo, s15
	s_delay_alu instid0(SALU_CYCLE_1) | instskip(NEXT) | instid1(SALU_CYCLE_1)
	s_or_b32 s13, s15, s13
	s_and_not1_b32 exec_lo, exec_lo, s13
	s_cbranch_execz .LBB2_932
.LBB2_926:                              ;   Parent Loop BB2_55 Depth=1
                                        ;     Parent Loop BB2_915 Depth=2
                                        ;       Parent Loop BB2_917 Depth=3
                                        ; =>      This Inner Loop Header: Depth=4
	s_sleep 1
	flat_load_b64 v[28:29], v[20:21] glc
	v_and_b32_e32 v11, 64, v30
	s_and_not1_b32 s14, s14, exec_lo
	s_mov_b32 s15, exec_lo
	s_delay_alu instid0(VALU_DEP_1)
	v_cmpx_eq_u32_e32 0, v11
	s_cbranch_execz .LBB2_925
; %bb.927:                              ;   in Loop: Header=BB2_926 Depth=4
	v_add_nc_u32_e32 v11, 1, v10
	s_mov_b32 s26, -1
	s_mov_b32 s17, exec_lo
	v_cmpx_lt_i32_e32 0x270e, v10
	s_cbranch_execz .LBB2_924
; %bb.928:                              ;   in Loop: Header=BB2_926 Depth=4
	s_cbranch_execnz .LBB2_1647
; %bb.929:                              ;   in Loop: Header=BB2_926 Depth=4
	ds_load_b64 v[10:11], v0
	s_mov_b32 vcc_hi, exec_lo
	s_waitcnt vmcnt(0) lgkmcnt(0)
	s_waitcnt_vscnt null, 0x0
	flat_load_b32 v10, v[10:11] glc
	s_waitcnt vmcnt(0) lgkmcnt(0)
	buffer_gl1_inv
	buffer_gl0_inv
	v_cmpx_ne_u32_e32 0, v10
	s_cbranch_execz .LBB2_923
; %bb.930:                              ;   in Loop: Header=BB2_926 Depth=4
	ds_store_b32 v0, v10
	s_cbranch_execnz .LBB2_1729
; %bb.931:                              ;   in Loop: Header=BB2_926 Depth=4
	v_or_b32_e32 v30, 64, v30
	s_xor_b32 s26, exec_lo, -1
	s_branch .LBB2_923
.LBB2_932:                              ;   in Loop: Header=BB2_917 Depth=3
	s_or_b32 exec_lo, exec_lo, s13
	v_and_b32_e32 v10, 12, v30
.LBB2_933:                              ;   in Loop: Header=BB2_917 Depth=3
	s_or_b32 exec_lo, exec_lo, s11
	s_delay_alu instid0(VALU_DEP_1)
	v_cmp_eq_u32_e32 vcc_lo, 0, v10
	;;#ASMSTART
	s_wakeup
	;;#ASMEND
	s_or_not1_b32 s11, vcc_lo, exec_lo
.LBB2_934:                              ;   in Loop: Header=BB2_917 Depth=3
	s_or_b32 exec_lo, exec_lo, s5
	v_sub_nc_u32_e32 v2, v68, v54
	s_xor_b32 s11, s11, -1
	s_delay_alu instid0(VALU_DEP_1)
	v_min_i32_e32 v52, v52, v2
	s_and_saveexec_b32 s5, s11
	s_cbranch_execz .LBB2_947
; %bb.935:                              ;   in Loop: Header=BB2_917 Depth=3
	v_and_b32_e32 v2, 0x108, v30
	s_delay_alu instid0(VALU_DEP_1) | instskip(SKIP_2) | instid1(SALU_CYCLE_1)
	v_cmp_ne_u32_e32 vcc_lo, 0x108, v2
	v_and_b32_e32 v2, 7, v22
	s_and_saveexec_b32 s11, vcc_lo
	s_xor_b32 s11, exec_lo, s11
	s_delay_alu instid0(SALU_CYCLE_1)
	s_and_not1_saveexec_b32 s11, s11
	s_cbranch_execz .LBB2_937
; %bb.936:                              ;   in Loop: Header=BB2_917 Depth=3
	v_ashrrev_i32_e32 v53, 31, v52
	v_mad_u64_u32 v[8:9], null, v2, 24, v[6:7]
	s_delay_alu instid0(VALU_DEP_2)
	v_lshlrev_b64 v[10:11], 3, v[52:53]
	flat_store_b64 v[8:9], v[10:11] offset:8
.LBB2_937:                              ;   in Loop: Header=BB2_917 Depth=3
	s_or_b32 exec_lo, exec_lo, s11
	v_and_b32_e32 v8, 0x100, v30
	s_mov_b32 s13, -1
	s_delay_alu instid0(VALU_DEP_1)
	v_cmp_ne_u32_e32 vcc_lo, 0, v8
                                        ; implicit-def: $vgpr8_vgpr9
	s_and_saveexec_b32 s11, vcc_lo
	s_cbranch_execz .LBB2_942
; %bb.938:                              ;   in Loop: Header=BB2_917 Depth=3
	v_mad_u64_u32 v[10:11], null, v2, 24, v[6:7]
	s_delay_alu instid0(VALU_DEP_1) | instskip(NEXT) | instid1(VALU_DEP_1)
	v_mov_b32_e32 v8, v11
	v_mad_u64_u32 v[66:67], null, v3, 24, v[8:9]
	s_delay_alu instid0(VALU_DEP_1) | instskip(SKIP_4) | instid1(VALU_DEP_1)
	v_mov_b32_e32 v11, v66
	flat_load_b32 v8, v[10:11]
	s_waitcnt vmcnt(0) lgkmcnt(0)
	v_cmp_ne_u32_e32 vcc_lo, 1, v8
	v_cmp_eq_u32_e64 s13, 1, v8
                                        ; implicit-def: $vgpr8_vgpr9
	s_and_saveexec_b32 s14, s13
	s_cbranch_execz .LBB2_940
; %bb.939:                              ;   in Loop: Header=BB2_917 Depth=3
	flat_load_b32 v8, v[10:11] offset:4 glc
	s_waitcnt vmcnt(0) lgkmcnt(0)
	v_ashrrev_i32_e32 v9, 31, v8
	s_delay_alu instid0(VALU_DEP_1)
	v_lshrrev_b64 v[8:9], 3, v[8:9]
.LBB2_940:                              ;   in Loop: Header=BB2_917 Depth=3
	s_or_b32 exec_lo, exec_lo, s14
	s_delay_alu instid0(SALU_CYCLE_1)
	s_or_not1_b32 s13, vcc_lo, exec_lo
	s_or_b32 exec_lo, exec_lo, s11
	s_and_saveexec_b32 s11, s13
	s_cbranch_execnz .LBB2_943
.LBB2_941:                              ;   in Loop: Header=BB2_917 Depth=3
	s_or_b32 exec_lo, exec_lo, s11
	s_cbranch_execz .LBB2_944
	s_branch .LBB2_1637
.LBB2_942:                              ;   in Loop: Header=BB2_917 Depth=3
	s_or_b32 exec_lo, exec_lo, s11
	s_and_saveexec_b32 s11, s13
	s_cbranch_execz .LBB2_941
.LBB2_943:                              ;   in Loop: Header=BB2_917 Depth=3
	v_mul_lo_u32 v10, v3, v86
	v_mul_lo_u32 v11, v2, v87
	v_mad_u64_u32 v[8:9], null, v2, v86, 0
	s_delay_alu instid0(VALU_DEP_1)
	v_add3_u32 v9, v9, v11, v10
	s_or_b32 exec_lo, exec_lo, s11
	s_cbranch_execnz .LBB2_1637
.LBB2_944:                              ;   in Loop: Header=BB2_917 Depth=3
	s_delay_alu instid0(VALU_DEP_1) | instskip(SKIP_2) | instid1(VALU_DEP_2)
	v_lshlrev_b64 v[8:9], 3, v[8:9]
	v_and_b32_e32 v2, 0x2000, v30
	s_mov_b32 s11, exec_lo
	v_add_co_u32 v8, vcc_lo, v24, v8
	s_delay_alu instid0(VALU_DEP_3)
	v_add_co_ci_u32_e32 v9, vcc_lo, v25, v9, vcc_lo
	ds_store_b64 v0, v[8:9]
	v_cmpx_ne_u32_e32 0, v2
	s_cbranch_execz .LBB2_946
; %bb.945:                              ;   in Loop: Header=BB2_917 Depth=3
	ds_load_b64 v[8:9], v0 offset:584
	s_waitcnt lgkmcnt(0)
	v_add_co_u32 v8, vcc_lo, v8, 1
	v_add_co_ci_u32_e32 v9, vcc_lo, 0, v9, vcc_lo
	ds_store_b64 v0, v[8:9] offset:584
.LBB2_946:                              ;   in Loop: Header=BB2_917 Depth=3
	s_or_b32 exec_lo, exec_lo, s11
	v_add_co_u32 v22, vcc_lo, v22, 2
	v_add_co_ci_u32_e32 v23, vcc_lo, 0, v23, vcc_lo
.LBB2_947:                              ;   in Loop: Header=BB2_917 Depth=3
	s_or_b32 exec_lo, exec_lo, s5
	s_and_saveexec_b32 s5, s3
	s_cbranch_execz .LBB2_969
; %bb.948:                              ;   in Loop: Header=BB2_917 Depth=3
	s_and_saveexec_b32 s11, s4
	s_delay_alu instid0(SALU_CYCLE_1)
	s_xor_b32 s11, exec_lo, s11
	s_cbranch_execz .LBB2_966
; %bb.949:                              ;   in Loop: Header=BB2_917 Depth=3
	s_and_saveexec_b32 s13, s1
	s_cbranch_execz .LBB2_965
; %bb.950:                              ;   in Loop: Header=BB2_917 Depth=3
	s_mov_b32 s15, exec_lo
	s_mov_b32 s14, exec_lo
	v_mbcnt_lo_u32_b32 v2, s15, 0
	s_waitcnt lgkmcnt(0)
	s_waitcnt_vscnt null, 0x0
	buffer_gl1_inv
	buffer_gl0_inv
	v_cmpx_eq_u32_e32 0, v2
	s_cbranch_execz .LBB2_952
; %bb.951:                              ;   in Loop: Header=BB2_917 Depth=3
	s_bcnt1_i32_b32 s15, s15
	s_delay_alu instid0(SALU_CYCLE_1)
	v_mov_b32_e32 v2, s15
	ds_add_u64 v0, v[2:3]
	s_cbranch_execnz .LBB2_1785
.LBB2_952:                              ;   in Loop: Header=BB2_917 Depth=3
	s_or_b32 exec_lo, exec_lo, s14
	s_cbranch_execnz .LBB2_1757
; %bb.953:                              ;   in Loop: Header=BB2_917 Depth=3
	ds_load_b64 v[8:9], v0
	v_add_co_u32 v12, vcc_lo, v12, v96
	v_add_co_ci_u32_e32 v13, vcc_lo, 0, v13, vcc_lo
	s_mov_b32 s14, exec_lo
	s_waitcnt lgkmcnt(0)
	s_delay_alu instid0(VALU_DEP_1)
	v_cmpx_lt_u64_e64 v[8:9], v[12:13]
	s_cbranch_execz .LBB2_964
; %bb.954:                              ;   in Loop: Header=BB2_917 Depth=3
	s_mov_b32 s15, 0
	s_mov_b32 vcc_hi, 0
                                        ; implicit-def: $sgpr17
                                        ; implicit-def: $sgpr26
	s_branch .LBB2_956
.LBB2_955:                              ;   in Loop: Header=BB2_956 Depth=4
	s_or_b32 exec_lo, exec_lo, s37
	s_delay_alu instid0(SALU_CYCLE_1) | instskip(NEXT) | instid1(SALU_CYCLE_1)
	s_and_b32 vcc_lo, exec_lo, vcc_lo
	s_or_b32 s15, vcc_lo, s15
	s_and_not1_b32 s17, s17, exec_lo
	s_and_b32 vcc_lo, s26, exec_lo
	s_delay_alu instid0(SALU_CYCLE_1)
	s_or_b32 s17, s17, vcc_lo
	s_and_not1_b32 exec_lo, exec_lo, s15
	s_cbranch_execz .LBB2_962
.LBB2_956:                              ;   Parent Loop BB2_55 Depth=1
                                        ;     Parent Loop BB2_915 Depth=2
                                        ;       Parent Loop BB2_917 Depth=3
                                        ; =>      This Inner Loop Header: Depth=4
	s_add_i32 vcc_hi, vcc_hi, 1
                                        ; implicit-def: $sgpr37
	s_delay_alu instid0(SALU_CYCLE_1) | instskip(SKIP_1) | instid1(SALU_CYCLE_1)
	s_cmpk_lg_i32 vcc_hi, 0x2710
	s_cselect_b32 s36, -1, 0
	s_and_b32 vcc_lo, exec_lo, s36
	s_cbranch_vccz .LBB2_960
.LBB2_957:                              ;   in Loop: Header=BB2_956 Depth=4
	s_and_not1_b32 s26, s26, exec_lo
	s_and_b32 s37, s37, exec_lo
	s_mov_b32 vcc_lo, -1
	s_or_b32 s26, s26, s37
	s_and_saveexec_b32 s37, s36
	s_cbranch_execz .LBB2_955
; %bb.958:                              ;   in Loop: Header=BB2_956 Depth=4
	s_sleep 1
	s_cbranch_execnz .LBB2_1837
; %bb.959:                              ;   in Loop: Header=BB2_956 Depth=4
	ds_load_b64 v[8:9], v0
	s_and_not1_b32 s26, s26, exec_lo
	s_waitcnt lgkmcnt(0)
	v_cmp_ge_u64_e32 vcc_lo, v[8:9], v[12:13]
	s_or_not1_b32 vcc_lo, vcc_lo, exec_lo
	s_branch .LBB2_955
.LBB2_960:                              ;   in Loop: Header=BB2_956 Depth=4
	s_cbranch_execnz .LBB2_1855
; %bb.961:                              ;   in Loop: Header=BB2_956 Depth=4
	ds_load_b64 v[8:9], v0
	s_and_not1_b32 s36, s36, exec_lo
	s_mov_b32 s37, -1
	s_waitcnt lgkmcnt(0)
	flat_load_b32 v2, v[8:9] glc
	s_waitcnt vmcnt(0) lgkmcnt(0)
	buffer_gl1_inv
	buffer_gl0_inv
	v_cmp_eq_u32_e32 vcc_lo, 0, v2
	s_mov_b32 vcc_hi, 0
	s_and_b32 vcc_lo, vcc_lo, exec_lo
	s_delay_alu instid0(SALU_CYCLE_1)
	s_or_b32 s36, s36, vcc_lo
	s_branch .LBB2_957
.LBB2_962:                              ;   in Loop: Header=BB2_917 Depth=3
	s_or_b32 exec_lo, exec_lo, s15
	s_and_saveexec_b32 s15, s17
	s_delay_alu instid0(SALU_CYCLE_1)
	s_xor_b32 s15, exec_lo, s15
	s_cbranch_execz .LBB2_964
; %bb.963:                              ;   in Loop: Header=BB2_917 Depth=3
	ds_store_b32 v0, v129
	s_cbranch_execnz .LBB2_1969
.LBB2_964:                              ;   in Loop: Header=BB2_917 Depth=3
	s_or_b32 exec_lo, exec_lo, s14
	;;#ASMSTART
	s_wakeup
	;;#ASMEND
.LBB2_965:                              ;   in Loop: Header=BB2_917 Depth=3
	s_or_b32 exec_lo, exec_lo, s13
.LBB2_966:                              ;   in Loop: Header=BB2_917 Depth=3
	s_and_not1_saveexec_b32 s11, s11
	s_cbranch_execz .LBB2_968
; %bb.967:                              ;   in Loop: Header=BB2_917 Depth=3
	s_waitcnt lgkmcnt(0)
	s_waitcnt_vscnt null, 0x0
	buffer_gl1_inv
	buffer_gl0_inv
	s_barrier
.LBB2_968:                              ;   in Loop: Header=BB2_917 Depth=3
	s_or_b32 exec_lo, exec_lo, s11
.LBB2_969:                              ;   in Loop: Header=BB2_917 Depth=3
	s_delay_alu instid0(SALU_CYCLE_1)
	s_or_b32 exec_lo, exec_lo, s5
	s_cbranch_execnz .LBB2_1621
; %bb.970:                              ;   in Loop: Header=BB2_917 Depth=3
	ds_load_b32 v8, v0
	v_and_b32_e32 v2, 0x4000, v30
	s_xor_b32 s5, s2, -1
	s_delay_alu instid0(VALU_DEP_1) | instskip(SKIP_1) | instid1(SALU_CYCLE_1)
	v_cmp_ne_u32_e32 vcc_lo, 0, v2
	s_and_b32 s11, s5, vcc_lo
	s_and_saveexec_b32 s5, s11
	s_cbranch_execz .LBB2_992
; %bb.971:                              ;   in Loop: Header=BB2_917 Depth=3
	s_and_saveexec_b32 s11, s4
	s_delay_alu instid0(SALU_CYCLE_1)
	s_xor_b32 s11, exec_lo, s11
	s_cbranch_execz .LBB2_989
; %bb.972:                              ;   in Loop: Header=BB2_917 Depth=3
	s_and_saveexec_b32 s13, s1
	s_cbranch_execz .LBB2_988
; %bb.973:                              ;   in Loop: Header=BB2_917 Depth=3
	s_mov_b32 s15, exec_lo
	s_mov_b32 s14, exec_lo
	v_mbcnt_lo_u32_b32 v2, s15, 0
	s_waitcnt lgkmcnt(0)
	s_waitcnt_vscnt null, 0x0
	buffer_gl1_inv
	buffer_gl0_inv
	v_cmpx_eq_u32_e32 0, v2
	s_cbranch_execz .LBB2_975
; %bb.974:                              ;   in Loop: Header=BB2_917 Depth=3
	s_bcnt1_i32_b32 s15, s15
	s_delay_alu instid0(SALU_CYCLE_1)
	v_mov_b32_e32 v2, s15
	ds_add_u64 v0, v[2:3]
	s_cbranch_execnz .LBB2_1827
.LBB2_975:                              ;   in Loop: Header=BB2_917 Depth=3
	s_or_b32 exec_lo, exec_lo, s14
	s_cbranch_execnz .LBB2_1807
; %bb.976:                              ;   in Loop: Header=BB2_917 Depth=3
	ds_load_b64 v[9:10], v0
	v_add_co_u32 v12, vcc_lo, v12, v96
	v_add_co_ci_u32_e32 v13, vcc_lo, 0, v13, vcc_lo
	s_mov_b32 s14, exec_lo
	s_waitcnt lgkmcnt(0)
	s_delay_alu instid0(VALU_DEP_1)
	v_cmpx_lt_u64_e64 v[9:10], v[12:13]
	s_cbranch_execz .LBB2_987
; %bb.977:                              ;   in Loop: Header=BB2_917 Depth=3
	s_mov_b32 s15, 0
	s_mov_b32 vcc_hi, 0
                                        ; implicit-def: $sgpr17
                                        ; implicit-def: $sgpr26
	s_branch .LBB2_979
.LBB2_978:                              ;   in Loop: Header=BB2_979 Depth=4
	s_or_b32 exec_lo, exec_lo, s37
	s_delay_alu instid0(SALU_CYCLE_1) | instskip(NEXT) | instid1(SALU_CYCLE_1)
	s_and_b32 vcc_lo, exec_lo, vcc_lo
	s_or_b32 s15, vcc_lo, s15
	s_and_not1_b32 s17, s17, exec_lo
	s_and_b32 vcc_lo, s26, exec_lo
	s_delay_alu instid0(SALU_CYCLE_1)
	s_or_b32 s17, s17, vcc_lo
	s_and_not1_b32 exec_lo, exec_lo, s15
	s_cbranch_execz .LBB2_985
.LBB2_979:                              ;   Parent Loop BB2_55 Depth=1
                                        ;     Parent Loop BB2_915 Depth=2
                                        ;       Parent Loop BB2_917 Depth=3
                                        ; =>      This Inner Loop Header: Depth=4
	s_add_i32 vcc_hi, vcc_hi, 1
                                        ; implicit-def: $sgpr37
	s_delay_alu instid0(SALU_CYCLE_1) | instskip(SKIP_1) | instid1(SALU_CYCLE_1)
	s_cmpk_lg_i32 vcc_hi, 0x2710
	s_cselect_b32 s36, -1, 0
	s_and_b32 vcc_lo, exec_lo, s36
	s_cbranch_vccz .LBB2_983
.LBB2_980:                              ;   in Loop: Header=BB2_979 Depth=4
	s_and_not1_b32 s26, s26, exec_lo
	s_and_b32 s37, s37, exec_lo
	s_mov_b32 vcc_lo, -1
	s_or_b32 s26, s26, s37
	s_and_saveexec_b32 s37, s36
	s_cbranch_execz .LBB2_978
; %bb.981:                              ;   in Loop: Header=BB2_979 Depth=4
	s_sleep 1
	s_cbranch_execnz .LBB2_1891
; %bb.982:                              ;   in Loop: Header=BB2_979 Depth=4
	ds_load_b64 v[9:10], v0
	s_and_not1_b32 s26, s26, exec_lo
	s_waitcnt lgkmcnt(0)
	v_cmp_ge_u64_e32 vcc_lo, v[9:10], v[12:13]
	s_or_not1_b32 vcc_lo, vcc_lo, exec_lo
	s_branch .LBB2_978
.LBB2_983:                              ;   in Loop: Header=BB2_979 Depth=4
	s_cbranch_execnz .LBB2_1899
; %bb.984:                              ;   in Loop: Header=BB2_979 Depth=4
	ds_load_b64 v[9:10], v0
	s_and_not1_b32 s36, s36, exec_lo
	s_mov_b32 s37, -1
	s_waitcnt lgkmcnt(0)
	flat_load_b32 v2, v[9:10] glc
	s_waitcnt vmcnt(0) lgkmcnt(0)
	buffer_gl1_inv
	buffer_gl0_inv
	v_cmp_eq_u32_e32 vcc_lo, 0, v2
	s_mov_b32 vcc_hi, 0
	s_and_b32 vcc_lo, vcc_lo, exec_lo
	s_delay_alu instid0(SALU_CYCLE_1)
	s_or_b32 s36, s36, vcc_lo
	s_branch .LBB2_980
.LBB2_985:                              ;   in Loop: Header=BB2_917 Depth=3
	s_or_b32 exec_lo, exec_lo, s15
	s_and_saveexec_b32 s15, s17
	s_delay_alu instid0(SALU_CYCLE_1)
	s_xor_b32 s15, exec_lo, s15
	s_cbranch_execz .LBB2_987
; %bb.986:                              ;   in Loop: Header=BB2_917 Depth=3
	ds_store_b32 v0, v129
	s_cbranch_execnz .LBB2_1983
.LBB2_987:                              ;   in Loop: Header=BB2_917 Depth=3
	s_or_b32 exec_lo, exec_lo, s14
	;;#ASMSTART
	s_wakeup
	;;#ASMEND
.LBB2_988:                              ;   in Loop: Header=BB2_917 Depth=3
	s_or_b32 exec_lo, exec_lo, s13
.LBB2_989:                              ;   in Loop: Header=BB2_917 Depth=3
	s_and_not1_saveexec_b32 s11, s11
	s_cbranch_execz .LBB2_991
; %bb.990:                              ;   in Loop: Header=BB2_917 Depth=3
	s_waitcnt lgkmcnt(0)
	s_waitcnt_vscnt null, 0x0
	buffer_gl1_inv
	buffer_gl0_inv
	s_barrier
.LBB2_991:                              ;   in Loop: Header=BB2_917 Depth=3
	s_or_b32 exec_lo, exec_lo, s11
.LBB2_992:                              ;   in Loop: Header=BB2_917 Depth=3
	s_delay_alu instid0(SALU_CYCLE_1)
	s_or_b32 exec_lo, exec_lo, s5
	s_cbranch_execnz .LBB2_1677
; %bb.993:                              ;   in Loop: Header=BB2_917 Depth=3
	ds_load_b64 v[9:10], v0
	v_mov_b32_e32 v53, 0
	s_waitcnt lgkmcnt(0)
	v_cmp_eq_u64_e32 vcc_lo, 0, v[9:10]
	s_or_b32 s5, vcc_lo, vcc_lo
	s_delay_alu instid0(SALU_CYCLE_1)
	s_and_b32 vcc_lo, exec_lo, s5
	s_cbranch_vccnz .LBB2_1072
; %bb.994:                              ;   in Loop: Header=BB2_917 Depth=3
	v_cmp_eq_u32_e32 vcc_lo, 0, v8
	s_cbranch_execnz .LBB2_1751
; %bb.995:                              ;   in Loop: Header=BB2_917 Depth=3
	ds_load_b64 v[8:9], v0
	v_cndmask_b32_e32 v53, 0, v52, vcc_lo
	s_mov_b32 s5, -1
	s_delay_alu instid0(VALU_DEP_1)
	v_lshlrev_b32_e32 v2, 3, v53
	s_waitcnt lgkmcnt(0)
	v_cmp_ne_u64_e32 vcc_lo, 0, v[8:9]
	s_cbranch_vccz .LBB2_1037
; %bb.996:                              ;   in Loop: Header=BB2_917 Depth=3
	s_mov_b32 s11, exec_lo
	v_readlane_b32 s13, v42, 4
	s_delay_alu instid0(VALU_DEP_1) | instskip(NEXT) | instid1(SALU_CYCLE_1)
	s_and_b32 s13, s11, s13
	s_mov_b32 exec_lo, s13
	s_cbranch_execz .LBB2_998
; %bb.997:                              ;   in Loop: Header=BB2_917 Depth=3
	ds_load_b32 v8, v0 offset:720
	s_waitcnt lgkmcnt(0)
	v_and_b32_e32 v8, 15, v8
	s_delay_alu instid0(VALU_DEP_1)
	v_cmp_eq_u32_e32 vcc_lo, 0, v8
	s_or_not1_b32 s5, vcc_lo, exec_lo
.LBB2_998:                              ;   in Loop: Header=BB2_917 Depth=3
	s_or_b32 exec_lo, exec_lo, s11
	s_and_saveexec_b32 s11, s12
	s_cbranch_execz .LBB2_1000
; %bb.999:                              ;   in Loop: Header=BB2_917 Depth=3
	ds_load_b32 v8, v0 offset:784
	s_waitcnt lgkmcnt(0)
	v_and_b32_e32 v8, 15, v8
	s_delay_alu instid0(VALU_DEP_1) | instskip(SKIP_3) | instid1(SALU_CYCLE_1)
	v_cmp_eq_u32_e32 vcc_lo, 0, v8
	s_and_b32 s13, s5, vcc_lo
	s_and_not1_b32 s5, s5, exec_lo
	s_and_b32 s13, s13, exec_lo
	s_or_b32 s5, s5, s13
.LBB2_1000:                             ;   in Loop: Header=BB2_917 Depth=3
	s_or_b32 exec_lo, exec_lo, s11
	s_xor_b32 s5, s5, -1
	v_dual_mov_b32 v55, 0 :: v_dual_mov_b32 v66, v2
	v_cndmask_b32_e64 v8, 0, 1, s5
	;;#ASMSTART
	;;#ASMEND
	s_delay_alu instid0(VALU_DEP_1)
	v_cmp_ne_u32_e32 vcc_lo, 0, v8
	v_dual_mov_b32 v67, v98 :: v_dual_mov_b32 v8, v97
	s_mov_b32 s11, -1
	s_cbranch_vccnz .LBB2_1020
; %bb.1001:                             ;   in Loop: Header=BB2_917 Depth=3
	v_ashrrev_i32_e32 v8, 31, v2
	v_sub_nc_u32_e32 v55, v2, v0
	s_mov_b32 s5, exec_lo
	s_delay_alu instid0(VALU_DEP_2) | instskip(NEXT) | instid1(VALU_DEP_1)
	v_lshrrev_b32_e32 v8, 23, v8
	v_add_nc_u32_e32 v8, v2, v8
	s_delay_alu instid0(VALU_DEP_1) | instskip(SKIP_1) | instid1(VALU_DEP_2)
	v_and_b32_e32 v69, 0xfffffe00, v8
	v_ashrrev_i32_e32 v8, 9, v8
	v_sub_nc_u32_e32 v81, v2, v69
	s_delay_alu instid0(VALU_DEP_1) | instskip(NEXT) | instid1(VALU_DEP_1)
	v_cmp_lt_i32_e64 s13, 15, v81
	v_add_co_ci_u32_e64 v80, vcc_lo, v8, v119, s13
	v_cmpx_lt_i32_e32 15, v55
	s_cbranch_execz .LBB2_1008
; %bb.1002:                             ;   in Loop: Header=BB2_917 Depth=3
	s_cbranch_execnz .LBB2_1913
; %bb.1003:                             ;   in Loop: Header=BB2_917 Depth=3
	ds_load_b64 v[66:67], v0
	ds_load_b128 v[8:11], v0
	s_mov_b32 s11, 0
	s_waitcnt lgkmcnt(1)
	v_add_co_u32 v66, vcc_lo, v66, v0
	v_add_co_ci_u32_e32 v67, vcc_lo, v67, v128, vcc_lo
	s_waitcnt lgkmcnt(0)
	v_add_co_u32 v70, vcc_lo, v8, v0
	v_add_co_ci_u32_e32 v82, vcc_lo, v9, v128, vcc_lo
	v_add_co_u32 v83, vcc_lo, v10, v0
	v_add_co_ci_u32_e32 v84, vcc_lo, v11, v128, vcc_lo
.LBB2_1004:                             ;   Parent Loop BB2_55 Depth=1
                                        ;     Parent Loop BB2_915 Depth=2
                                        ;       Parent Loop BB2_917 Depth=3
                                        ; =>      This Loop Header: Depth=4
                                        ;           Child Loop BB2_1005 Depth 5
	global_load_b128 v[8:11], v[66:67], off slc dlc
	s_mov_b64 s[14:15], 0
	s_mov_b32 s17, -1
.LBB2_1005:                             ;   Parent Loop BB2_55 Depth=1
                                        ;     Parent Loop BB2_915 Depth=2
                                        ;       Parent Loop BB2_917 Depth=3
                                        ;         Parent Loop BB2_1004 Depth=4
                                        ; =>        This Inner Loop Header: Depth=5
	s_cmp_eq_u32 s14, 0
	v_cndmask_b32_e64 v85, 0, 1, s17
	s_cselect_b32 vcc_lo, -1, 0
	s_cmp_eq_u32 s14, 1
	s_mov_b32 s17, 0
	s_cselect_b32 s14, -1, 0
	s_delay_alu instid0(SALU_CYCLE_1) | instskip(SKIP_1) | instid1(VALU_DEP_2)
	v_cndmask_b32_e64 v130, v70, v83, s14
	v_cndmask_b32_e64 v131, v82, v84, s14
	v_add_co_u32 v132, s15, 0x200, v130
	s_delay_alu instid0(VALU_DEP_1) | instskip(SKIP_1) | instid1(VALU_DEP_3)
	v_add_co_ci_u32_e64 v133, s15, 0, v131, s15
	v_cmp_ne_u32_e64 s15, 1, v85
	v_cndmask_b32_e64 v83, v83, v132, s14
	v_cndmask_b32_e32 v70, v70, v132, vcc_lo
	s_delay_alu instid0(VALU_DEP_4)
	v_cndmask_b32_e64 v84, v84, v133, s14
	v_cndmask_b32_e32 v82, v82, v133, vcc_lo
	s_and_b32 vcc_lo, exec_lo, s15
	s_mov_b64 s[14:15], 1
	s_waitcnt vmcnt(0)
	global_store_b128 v[130:131], v[8:11], off glc slc dlc
	s_cbranch_vccz .LBB2_1005
; %bb.1006:                             ;   in Loop: Header=BB2_1004 Depth=4
	v_add_co_u32 v70, vcc_lo, v70, v100
	v_sub_nc_u32_e32 v55, v55, v99
	v_add_co_ci_u32_e32 v82, vcc_lo, v82, v112, vcc_lo
	v_add_co_u32 v83, vcc_lo, v83, v100
	v_add_co_ci_u32_e32 v84, vcc_lo, v84, v112, vcc_lo
	s_delay_alu instid0(VALU_DEP_4) | instskip(SKIP_1) | instid1(VALU_DEP_1)
	v_cmp_gt_i32_e32 vcc_lo, 16, v55
	v_add_co_u32 v66, s14, v114, v66
	v_add_co_ci_u32_e64 v67, s14, v115, v67, s14
	v_sub_nc_u32_e32 v80, v80, v96
	s_or_b32 s11, vcc_lo, s11
	s_delay_alu instid0(SALU_CYCLE_1)
	s_and_not1_b32 exec_lo, exec_lo, s11
	s_cbranch_execnz .LBB2_1004
; %bb.1007:                             ;   in Loop: Header=BB2_917 Depth=3
	s_or_b32 exec_lo, exec_lo, s11
.LBB2_1008:                             ;   in Loop: Header=BB2_917 Depth=3
	s_delay_alu instid0(SALU_CYCLE_1) | instskip(SKIP_4) | instid1(VALU_DEP_2)
	s_or_b32 exec_lo, exec_lo, s5
	v_and_b32_e32 v9, 8, v2
	v_mov_b32_e32 v55, 0
	s_mov_b32 s11, 0
	s_mov_b32 s5, exec_lo
                                        ; implicit-def: $vgpr66
                                        ; implicit-def: $vgpr67
                                        ; implicit-def: $vgpr8
	v_cndmask_b32_e64 v70, v81, v9, s13
	s_delay_alu instid0(VALU_DEP_1)
	v_cmpx_ne_u32_e32 0, v70
	s_cbranch_execz .LBB2_1019
; %bb.1009:                             ;   in Loop: Header=BB2_917 Depth=3
	v_cmp_lt_i32_e32 vcc_lo, 0, v80
	v_ashrrev_i32_e32 v11, 31, v70
	v_sub_nc_u32_e32 v9, v81, v9
	s_mov_b32 s11, exec_lo
	v_cndmask_b32_e32 v8, 0, v96, vcc_lo
	s_delay_alu instid0(VALU_DEP_3) | instskip(NEXT) | instid1(VALU_DEP_3)
	v_lshrrev_b32_e32 v11, 23, v11
	v_cndmask_b32_e64 v9, 0, v9, s13
	s_delay_alu instid0(VALU_DEP_3) | instskip(NEXT) | instid1(VALU_DEP_3)
	v_sub_nc_u32_e32 v8, v8, v80
	v_add_nc_u32_e32 v11, v70, v11
	s_delay_alu instid0(VALU_DEP_3) | instskip(NEXT) | instid1(VALU_DEP_3)
	v_add_nc_u32_e32 v69, v9, v69
	v_lshl_add_u32 v8, v8, 5, v98
	s_delay_alu instid0(VALU_DEP_3) | instskip(SKIP_1) | instid1(VALU_DEP_3)
	v_and_b32_e32 v80, 0xfffffe00, v11
	v_ashrrev_i32_e32 v11, 9, v11
	v_ashrrev_i32_e32 v10, 31, v8
	s_delay_alu instid0(VALU_DEP_3) | instskip(NEXT) | instid1(VALU_DEP_2)
	v_sub_nc_u32_e32 v81, v70, v80
	v_lshrrev_b32_e32 v10, 27, v10
	s_delay_alu instid0(VALU_DEP_2) | instskip(NEXT) | instid1(VALU_DEP_2)
	v_cmp_lt_i32_e64 s13, 15, v81
	v_add_nc_u32_e32 v10, v8, v10
	s_delay_alu instid0(VALU_DEP_2) | instskip(NEXT) | instid1(VALU_DEP_2)
	v_add_co_ci_u32_e64 v11, vcc_lo, 0, v11, s13
	v_and_b32_e32 v55, 0xffffffe0, v10
	v_ashrrev_i32_e32 v10, 5, v10
	s_delay_alu instid0(VALU_DEP_2) | instskip(NEXT) | instid1(VALU_DEP_2)
	v_sub_nc_u32_e32 v82, v8, v55
	v_sub_nc_u32_e32 v83, v11, v10
	s_delay_alu instid0(VALU_DEP_2) | instskip(NEXT) | instid1(VALU_DEP_1)
	v_lshlrev_b32_e32 v8, 4, v82
	v_lshl_add_u32 v8, v10, 9, v8
	s_delay_alu instid0(VALU_DEP_1) | instskip(NEXT) | instid1(VALU_DEP_1)
	v_sub_nc_u32_e32 v55, v70, v8
	v_cmpx_lt_i32_e32 15, v55
	s_cbranch_execz .LBB2_1016
; %bb.1010:                             ;   in Loop: Header=BB2_917 Depth=3
	s_cbranch_execnz .LBB2_1951
; %bb.1011:                             ;   in Loop: Header=BB2_917 Depth=3
	ds_load_b64 v[9:10], v0
	ds_load_b128 v[130:133], v0
	v_add_nc_u32_e32 v8, v8, v69
	s_mov_b32 s17, 0
	s_delay_alu instid0(VALU_DEP_1) | instskip(SKIP_2) | instid1(VALU_DEP_2)
	v_ashrrev_i32_e32 v11, 31, v8
	s_waitcnt lgkmcnt(1)
	v_add_co_u32 v66, vcc_lo, v9, v8
	v_add_co_ci_u32_e32 v67, vcc_lo, v10, v11, vcc_lo
	s_waitcnt lgkmcnt(0)
	v_add_co_u32 v84, vcc_lo, v130, v8
	v_add_co_ci_u32_e32 v85, vcc_lo, v131, v11, vcc_lo
	v_add_co_u32 v130, vcc_lo, v132, v8
	v_add_co_ci_u32_e32 v131, vcc_lo, v133, v11, vcc_lo
.LBB2_1012:                             ;   Parent Loop BB2_55 Depth=1
                                        ;     Parent Loop BB2_915 Depth=2
                                        ;       Parent Loop BB2_917 Depth=3
                                        ; =>      This Loop Header: Depth=4
                                        ;           Child Loop BB2_1013 Depth 5
	global_load_b128 v[8:11], v[66:67], off slc dlc
	s_mov_b64 s[14:15], 0
	s_mov_b32 s26, -1
.LBB2_1013:                             ;   Parent Loop BB2_55 Depth=1
                                        ;     Parent Loop BB2_915 Depth=2
                                        ;       Parent Loop BB2_917 Depth=3
                                        ;         Parent Loop BB2_1012 Depth=4
                                        ; =>        This Inner Loop Header: Depth=5
	s_cmp_eq_u32 s14, 0
	v_cndmask_b32_e64 v134, 0, 1, s26
	s_cselect_b32 vcc_lo, -1, 0
	s_cmp_eq_u32 s14, 1
	s_mov_b32 s26, 0
	s_cselect_b32 s14, -1, 0
	s_delay_alu instid0(SALU_CYCLE_1) | instskip(SKIP_1) | instid1(VALU_DEP_2)
	v_cndmask_b32_e64 v132, v84, v130, s14
	v_cndmask_b32_e64 v133, v85, v131, s14
	v_add_co_u32 v135, s15, 0x200, v132
	s_delay_alu instid0(VALU_DEP_1) | instskip(SKIP_1) | instid1(VALU_DEP_3)
	v_add_co_ci_u32_e64 v144, s15, 0, v133, s15
	v_cmp_ne_u32_e64 s15, 1, v134
	v_cndmask_b32_e64 v130, v130, v135, s14
	v_cndmask_b32_e32 v84, v84, v135, vcc_lo
	s_delay_alu instid0(VALU_DEP_4)
	v_cndmask_b32_e64 v131, v131, v144, s14
	v_cndmask_b32_e32 v85, v85, v144, vcc_lo
	s_and_b32 vcc_lo, exec_lo, s15
	s_mov_b64 s[14:15], 1
	s_waitcnt vmcnt(0)
	global_store_b128 v[132:133], v[8:11], off glc slc dlc
	s_cbranch_vccz .LBB2_1013
; %bb.1014:                             ;   in Loop: Header=BB2_1012 Depth=4
	v_add_co_u32 v84, vcc_lo, v84, v100
	v_sub_nc_u32_e32 v55, v55, v99
	v_add_co_ci_u32_e32 v85, vcc_lo, v85, v112, vcc_lo
	v_add_co_u32 v130, vcc_lo, v130, v100
	v_add_co_ci_u32_e32 v131, vcc_lo, v131, v112, vcc_lo
	s_delay_alu instid0(VALU_DEP_4) | instskip(SKIP_1) | instid1(VALU_DEP_1)
	v_cmp_gt_i32_e32 vcc_lo, 16, v55
	v_add_co_u32 v66, s14, v114, v66
	v_add_co_ci_u32_e64 v67, s14, v115, v67, s14
	v_sub_nc_u32_e32 v83, v83, v96
	s_or_b32 s17, vcc_lo, s17
	s_delay_alu instid0(SALU_CYCLE_1)
	s_and_not1_b32 exec_lo, exec_lo, s17
	s_cbranch_execnz .LBB2_1012
; %bb.1015:                             ;   in Loop: Header=BB2_917 Depth=3
	s_or_b32 exec_lo, exec_lo, s17
.LBB2_1016:                             ;   in Loop: Header=BB2_917 Depth=3
	s_delay_alu instid0(SALU_CYCLE_1) | instskip(SKIP_4) | instid1(VALU_DEP_2)
	s_or_b32 exec_lo, exec_lo, s11
	v_and_b32_e32 v9, 8, v70
	v_mov_b32_e32 v55, 0
	s_mov_b32 s11, 0
	s_mov_b32 s14, exec_lo
                                        ; implicit-def: $vgpr67
                                        ; implicit-def: $vgpr8
	v_cndmask_b32_e64 v66, v81, v9, s13
	s_delay_alu instid0(VALU_DEP_1)
	v_cmpx_ne_u32_e32 0, v66
	s_cbranch_execz .LBB2_1018
; %bb.1017:                             ;   in Loop: Header=BB2_917 Depth=3
	v_cmp_lt_i32_e32 vcc_lo, 0, v83
	v_sub_nc_u32_e32 v9, v81, v9
	s_mov_b32 s11, exec_lo
	v_cndmask_b32_e32 v8, 0, v96, vcc_lo
	s_delay_alu instid0(VALU_DEP_2) | instskip(NEXT) | instid1(VALU_DEP_2)
	v_cndmask_b32_e64 v9, 0, v9, s13
	v_sub_nc_u32_e32 v8, v8, v83
	s_delay_alu instid0(VALU_DEP_2) | instskip(NEXT) | instid1(VALU_DEP_2)
	v_add3_u32 v55, v80, v69, v9
	v_lshl_add_u32 v10, v8, 5, v82
	s_delay_alu instid0(VALU_DEP_1) | instskip(NEXT) | instid1(VALU_DEP_1)
	v_ashrrev_i32_e32 v8, 31, v10
	v_lshrrev_b32_e32 v8, 27, v8
	s_delay_alu instid0(VALU_DEP_1) | instskip(NEXT) | instid1(VALU_DEP_1)
	v_add_nc_u32_e32 v8, v10, v8
	v_and_b32_e32 v11, 0xffffffe0, v8
	v_ashrrev_i32_e32 v8, 5, v8
	s_delay_alu instid0(VALU_DEP_2)
	v_sub_nc_u32_e32 v67, v10, v11
.LBB2_1018:                             ;   in Loop: Header=BB2_917 Depth=3
	s_or_b32 exec_lo, exec_lo, s14
	s_delay_alu instid0(SALU_CYCLE_1)
	s_and_b32 s11, s11, exec_lo
.LBB2_1019:                             ;   in Loop: Header=BB2_917 Depth=3
	s_or_b32 exec_lo, exec_lo, s5
.LBB2_1020:                             ;   in Loop: Header=BB2_917 Depth=3
	s_and_saveexec_b32 s5, s11
	s_cbranch_execz .LBB2_1036
; %bb.1021:                             ;   in Loop: Header=BB2_917 Depth=3
	v_ashrrev_i32_e32 v9, 31, v66
	v_lshlrev_b32_e32 v10, 3, v67
	s_mov_b32 s11, exec_lo
	s_delay_alu instid0(VALU_DEP_2) | instskip(NEXT) | instid1(VALU_DEP_1)
	v_lshrrev_b32_e32 v9, 24, v9
	v_add_nc_u32_e32 v9, v66, v9
	s_delay_alu instid0(VALU_DEP_1) | instskip(SKIP_2) | instid1(VALU_DEP_3)
	v_and_b32_e32 v69, 0xffffff00, v9
	v_ashrrev_i32_e32 v11, 8, v9
	v_lshl_add_u32 v9, v8, 8, v10
	v_sub_nc_u32_e32 v70, v66, v69
	s_delay_alu instid0(VALU_DEP_3) | instskip(NEXT) | instid1(VALU_DEP_3)
	v_sub_nc_u32_e32 v8, v11, v8
	v_sub_nc_u32_e32 v81, v66, v9
	s_delay_alu instid0(VALU_DEP_3) | instskip(NEXT) | instid1(VALU_DEP_1)
	v_cmp_lt_i32_e64 s13, 7, v70
	v_add_co_ci_u32_e64 v80, vcc_lo, 0, v8, s13
	s_delay_alu instid0(VALU_DEP_3)
	v_cmpx_lt_i32_e32 7, v81
	s_cbranch_execz .LBB2_1028
; %bb.1022:                             ;   in Loop: Header=BB2_917 Depth=3
	s_cbranch_execnz .LBB2_1909
; %bb.1023:                             ;   in Loop: Header=BB2_917 Depth=3
	ds_load_b64 v[10:11], v0
	ds_load_b128 v[82:85], v0
	v_add_nc_u32_e32 v130, v9, v55
	s_mov_b32 s17, 0
	s_delay_alu instid0(VALU_DEP_1) | instskip(SKIP_2) | instid1(VALU_DEP_2)
	v_ashrrev_i32_e32 v131, 31, v130
	s_waitcnt lgkmcnt(1)
	v_add_co_u32 v8, vcc_lo, v10, v130
	v_add_co_ci_u32_e32 v9, vcc_lo, v11, v131, vcc_lo
	s_waitcnt lgkmcnt(0)
	v_add_co_u32 v82, vcc_lo, v82, v130
	v_add_co_ci_u32_e32 v83, vcc_lo, v83, v131, vcc_lo
	v_add_co_u32 v84, vcc_lo, v84, v130
	v_add_co_ci_u32_e32 v85, vcc_lo, v85, v131, vcc_lo
.LBB2_1024:                             ;   Parent Loop BB2_55 Depth=1
                                        ;     Parent Loop BB2_915 Depth=2
                                        ;       Parent Loop BB2_917 Depth=3
                                        ; =>      This Loop Header: Depth=4
                                        ;           Child Loop BB2_1025 Depth 5
	flat_load_b64 v[10:11], v[8:9] slc dlc
	s_mov_b64 s[14:15], 0
	s_mov_b32 s26, -1
.LBB2_1025:                             ;   Parent Loop BB2_55 Depth=1
                                        ;     Parent Loop BB2_915 Depth=2
                                        ;       Parent Loop BB2_917 Depth=3
                                        ;         Parent Loop BB2_1024 Depth=4
                                        ; =>        This Inner Loop Header: Depth=5
	s_cmp_eq_u32 s14, 0
	v_cndmask_b32_e64 v132, 0, 1, s26
	s_cselect_b32 vcc_lo, -1, 0
	s_cmp_eq_u32 s14, 1
	s_mov_b32 s26, 0
	s_cselect_b32 s14, -1, 0
	s_delay_alu instid0(SALU_CYCLE_1) | instskip(SKIP_1) | instid1(VALU_DEP_2)
	v_cndmask_b32_e64 v130, v82, v84, s14
	v_cndmask_b32_e64 v131, v83, v85, s14
	v_add_co_u32 v133, s15, 0x100, v130
	s_delay_alu instid0(VALU_DEP_1) | instskip(SKIP_1) | instid1(VALU_DEP_3)
	v_add_co_ci_u32_e64 v134, s15, 0, v131, s15
	v_cmp_ne_u32_e64 s15, 1, v132
	v_cndmask_b32_e64 v84, v84, v133, s14
	v_cndmask_b32_e32 v82, v82, v133, vcc_lo
	s_delay_alu instid0(VALU_DEP_4)
	v_cndmask_b32_e64 v85, v85, v134, s14
	v_cndmask_b32_e32 v83, v83, v134, vcc_lo
	s_and_b32 vcc_lo, exec_lo, s15
	s_mov_b64 s[14:15], 1
	s_waitcnt vmcnt(0) lgkmcnt(0)
	flat_store_b64 v[130:131], v[10:11] glc slc dlc
	s_cbranch_vccz .LBB2_1025
; %bb.1026:                             ;   in Loop: Header=BB2_1024 Depth=4
	v_add_co_u32 v82, vcc_lo, v82, v113
	v_sub_nc_u32_e32 v81, v81, v101
	v_add_co_ci_u32_e32 v83, vcc_lo, v83, v116, vcc_lo
	v_add_co_u32 v84, vcc_lo, v84, v113
	v_add_co_ci_u32_e32 v85, vcc_lo, v85, v116, vcc_lo
	s_delay_alu instid0(VALU_DEP_4) | instskip(SKIP_1) | instid1(VALU_DEP_1)
	v_cmp_gt_i32_e32 vcc_lo, 8, v81
	v_add_co_u32 v8, s14, v117, v8
	v_add_co_ci_u32_e64 v9, s14, v118, v9, s14
	v_sub_nc_u32_e32 v80, v80, v96
	s_or_b32 s17, vcc_lo, s17
	s_delay_alu instid0(SALU_CYCLE_1)
	s_and_not1_b32 exec_lo, exec_lo, s17
	s_cbranch_execnz .LBB2_1024
; %bb.1027:                             ;   in Loop: Header=BB2_917 Depth=3
	s_or_b32 exec_lo, exec_lo, s17
.LBB2_1028:                             ;   in Loop: Header=BB2_917 Depth=3
	s_delay_alu instid0(SALU_CYCLE_1) | instskip(SKIP_2) | instid1(VALU_DEP_1)
	s_or_b32 exec_lo, exec_lo, s11
	v_and_b32_e32 v8, 7, v66
	s_mov_b32 s11, exec_lo
	v_cndmask_b32_e64 v10, v70, v8, s13
	s_delay_alu instid0(VALU_DEP_1)
	v_cmpx_ne_u32_e32 0, v10
	s_cbranch_execz .LBB2_1035
; %bb.1029:                             ;   in Loop: Header=BB2_917 Depth=3
	v_cmp_lt_i32_e32 vcc_lo, 0, v80
	v_cndmask_b32_e32 v9, 0, v96, vcc_lo
	s_delay_alu instid0(VALU_DEP_1) | instskip(NEXT) | instid1(VALU_DEP_1)
	v_sub_nc_u32_e32 v9, v9, v80
	v_lshl_add_u32 v9, v9, 5, v67
	s_delay_alu instid0(VALU_DEP_1) | instskip(NEXT) | instid1(VALU_DEP_1)
	v_ashrrev_i32_e32 v11, 31, v9
	v_lshrrev_b32_e32 v11, 27, v11
	s_delay_alu instid0(VALU_DEP_1) | instskip(NEXT) | instid1(VALU_DEP_1)
	v_add_nc_u32_e32 v11, v9, v11
	v_and_b32_e32 v66, 0x1fffffe0, v11
	v_lshlrev_b32_e32 v11, 3, v11
	s_delay_alu instid0(VALU_DEP_2) | instskip(NEXT) | instid1(VALU_DEP_2)
	v_sub_nc_u32_e32 v9, v9, v66
	v_and_b32_e32 v11, 0xffffff00, v11
	s_delay_alu instid0(VALU_DEP_1) | instskip(NEXT) | instid1(VALU_DEP_1)
	v_lshl_add_u32 v9, v9, 3, v11
	v_sub_nc_u32_e32 v66, v10, v9
	s_delay_alu instid0(VALU_DEP_1)
	v_cmp_lt_i32_e32 vcc_lo, 7, v66
	s_and_b32 exec_lo, exec_lo, vcc_lo
	s_cbranch_execz .LBB2_1035
; %bb.1030:                             ;   in Loop: Header=BB2_917 Depth=3
	s_cbranch_execnz .LBB2_1945
; %bb.1031:                             ;   in Loop: Header=BB2_917 Depth=3
	ds_load_b64 v[10:11], v0
	ds_load_b128 v[80:83], v0
	v_sub_nc_u32_e32 v8, v70, v8
	v_add_nc_u32_e32 v55, v69, v55
	s_mov_b32 s17, 0
	s_delay_alu instid0(VALU_DEP_2) | instskip(NEXT) | instid1(VALU_DEP_1)
	v_cndmask_b32_e64 v8, 0, v8, s13
	v_add3_u32 v69, v55, v8, v9
	s_delay_alu instid0(VALU_DEP_1) | instskip(SKIP_2) | instid1(VALU_DEP_2)
	v_ashrrev_i32_e32 v70, 31, v69
	s_waitcnt lgkmcnt(1)
	v_add_co_u32 v8, vcc_lo, v10, v69
	v_add_co_ci_u32_e32 v9, vcc_lo, v11, v70, vcc_lo
	s_waitcnt lgkmcnt(0)
	v_add_co_u32 v55, vcc_lo, v80, v69
	v_add_co_ci_u32_e32 v67, vcc_lo, v81, v70, vcc_lo
	v_add_co_u32 v69, vcc_lo, v82, v69
	v_add_co_ci_u32_e32 v70, vcc_lo, v83, v70, vcc_lo
	s_set_inst_prefetch_distance 0x1
.LBB2_1032:                             ;   Parent Loop BB2_55 Depth=1
                                        ;     Parent Loop BB2_915 Depth=2
                                        ;       Parent Loop BB2_917 Depth=3
                                        ; =>      This Loop Header: Depth=4
                                        ;           Child Loop BB2_1033 Depth 5
	flat_load_b64 v[10:11], v[8:9] slc dlc
	s_mov_b64 s[14:15], 0
	s_mov_b32 s13, -1
.LBB2_1033:                             ;   Parent Loop BB2_55 Depth=1
                                        ;     Parent Loop BB2_915 Depth=2
                                        ;       Parent Loop BB2_917 Depth=3
                                        ;         Parent Loop BB2_1032 Depth=4
                                        ; =>        This Inner Loop Header: Depth=5
	s_cmp_eq_u32 s14, 0
	v_cndmask_b32_e64 v82, 0, 1, s13
	s_cselect_b32 vcc_lo, -1, 0
	s_cmp_eq_u32 s14, 1
	s_cselect_b32 s13, -1, 0
	s_delay_alu instid0(SALU_CYCLE_1) | instskip(SKIP_1) | instid1(VALU_DEP_2)
	v_cndmask_b32_e64 v80, v55, v69, s13
	v_cndmask_b32_e64 v81, v67, v70, s13
	v_add_co_u32 v83, s14, 0x100, v80
	s_delay_alu instid0(VALU_DEP_1) | instskip(SKIP_1) | instid1(VALU_DEP_3)
	v_add_co_ci_u32_e64 v84, s14, 0, v81, s14
	v_cmp_ne_u32_e64 s14, 1, v82
	v_cndmask_b32_e64 v69, v69, v83, s13
	v_cndmask_b32_e32 v55, v55, v83, vcc_lo
	s_delay_alu instid0(VALU_DEP_4)
	v_cndmask_b32_e64 v70, v70, v84, s13
	v_cndmask_b32_e32 v67, v67, v84, vcc_lo
	s_mov_b32 s13, 0
	s_and_b32 vcc_lo, exec_lo, s14
	s_mov_b64 s[14:15], 1
	s_waitcnt vmcnt(0) lgkmcnt(0)
	flat_store_b64 v[80:81], v[10:11] glc slc dlc
	s_cbranch_vccz .LBB2_1033
; %bb.1034:                             ;   in Loop: Header=BB2_1032 Depth=4
	v_add_co_u32 v55, vcc_lo, v55, v113
	v_sub_nc_u32_e32 v66, v66, v101
	v_add_co_ci_u32_e32 v67, vcc_lo, v67, v116, vcc_lo
	v_add_co_u32 v69, vcc_lo, v69, v113
	v_add_co_ci_u32_e32 v70, vcc_lo, v70, v116, vcc_lo
	s_delay_alu instid0(VALU_DEP_4) | instskip(SKIP_1) | instid1(VALU_DEP_1)
	v_cmp_gt_i32_e32 vcc_lo, 8, v66
	v_add_co_u32 v8, s13, v117, v8
	v_add_co_ci_u32_e64 v9, s13, v118, v9, s13
	s_or_b32 s17, vcc_lo, s17
	s_delay_alu instid0(SALU_CYCLE_1)
	s_and_not1_b32 exec_lo, exec_lo, s17
	s_cbranch_execnz .LBB2_1032
.LBB2_1035:                             ;   in Loop: Header=BB2_917 Depth=3
	s_set_inst_prefetch_distance 0x2
	s_or_b32 exec_lo, exec_lo, s11
.LBB2_1036:                             ;   in Loop: Header=BB2_917 Depth=3
	s_delay_alu instid0(SALU_CYCLE_1)
	s_or_b32 exec_lo, exec_lo, s5
	s_mov_b32 s5, 0
.LBB2_1037:                             ;   in Loop: Header=BB2_917 Depth=3
	s_delay_alu instid0(SALU_CYCLE_1)
	s_and_b32 vcc_lo, exec_lo, s5
	s_cbranch_vccz .LBB2_1072
; %bb.1038:                             ;   in Loop: Header=BB2_917 Depth=3
	s_mov_b32 s5, -1
	s_mov_b32 s11, exec_lo
	v_readlane_b32 s13, v42, 4
	s_delay_alu instid0(VALU_DEP_1) | instskip(NEXT) | instid1(SALU_CYCLE_1)
	s_and_b32 s13, s11, s13
	s_mov_b32 exec_lo, s13
	s_cbranch_execz .LBB2_1040
; %bb.1039:                             ;   in Loop: Header=BB2_917 Depth=3
	ds_load_b32 v8, v0 offset:720
	s_waitcnt lgkmcnt(0)
	v_and_b32_e32 v8, 15, v8
	s_delay_alu instid0(VALU_DEP_1)
	v_cmp_eq_u32_e32 vcc_lo, 0, v8
	s_or_not1_b32 s5, vcc_lo, exec_lo
.LBB2_1040:                             ;   in Loop: Header=BB2_917 Depth=3
	s_or_b32 exec_lo, exec_lo, s11
	s_delay_alu instid0(SALU_CYCLE_1) | instskip(SKIP_1) | instid1(VALU_DEP_1)
	s_mov_b32 s11, exec_lo
	v_readlane_b32 s13, v42, 3
	s_and_b32 s13, s11, s13
	s_delay_alu instid0(SALU_CYCLE_1)
	s_mov_b32 exec_lo, s13
	s_cbranch_execz .LBB2_1042
; %bb.1041:                             ;   in Loop: Header=BB2_917 Depth=3
	ds_load_b32 v8, v0 offset:784
	s_waitcnt lgkmcnt(0)
	v_and_b32_e32 v8, 15, v8
	s_delay_alu instid0(VALU_DEP_1) | instskip(SKIP_3) | instid1(SALU_CYCLE_1)
	v_cmp_eq_u32_e32 vcc_lo, 0, v8
	s_and_b32 s13, s5, vcc_lo
	s_and_not1_b32 s5, s5, exec_lo
	s_and_b32 s13, s13, exec_lo
	s_or_b32 s5, s5, s13
.LBB2_1042:                             ;   in Loop: Header=BB2_917 Depth=3
	s_or_b32 exec_lo, exec_lo, s11
	s_xor_b32 s5, s5, -1
	v_mov_b32_e32 v10, 0
	v_cndmask_b32_e64 v8, 0, 1, s5
	;;#ASMSTART
	;;#ASMEND
	s_delay_alu instid0(VALU_DEP_1)
	v_cmp_ne_u32_e32 vcc_lo, 0, v8
	s_mov_b32 s11, -1
	s_cbranch_vccz .LBB2_1044
; %bb.1043:                             ;   in Loop: Header=BB2_917 Depth=3
	v_dual_mov_b32 v11, v98 :: v_dual_mov_b32 v8, v97
	s_branch .LBB2_1059
.LBB2_1044:                             ;   in Loop: Header=BB2_917 Depth=3
	v_ashrrev_i32_e32 v8, 31, v2
	s_mov_b32 s5, exec_lo
	s_delay_alu instid0(VALU_DEP_1) | instskip(NEXT) | instid1(VALU_DEP_1)
	v_lshrrev_b32_e32 v8, 22, v8
	v_add_nc_u32_e32 v8, v2, v8
	s_delay_alu instid0(VALU_DEP_1) | instskip(NEXT) | instid1(VALU_DEP_1)
	v_ashrrev_i32_e32 v55, 10, v8
	v_sub_nc_u32_e32 v66, v55, v97
	s_delay_alu instid0(VALU_DEP_1)
	v_cmpx_lt_i32_e32 0, v66
	s_cbranch_execz .LBB2_1049
; %bb.1045:                             ;   in Loop: Header=BB2_917 Depth=3
	s_cbranch_execnz .LBB2_1929
; %bb.1046:                             ;   in Loop: Header=BB2_917 Depth=3
	ds_load_b64 v[8:9], v0
	v_dual_mov_b32 v10, v34 :: v_dual_mov_b32 v11, v35
	s_mov_b32 s11, 0
.LBB2_1047:                             ;   Parent Loop BB2_55 Depth=1
                                        ;     Parent Loop BB2_915 Depth=2
                                        ;       Parent Loop BB2_917 Depth=3
                                        ; =>      This Inner Loop Header: Depth=4
	s_waitcnt lgkmcnt(0)
	s_delay_alu instid0(VALU_DEP_1) | instskip(NEXT) | instid1(VALU_DEP_2)
	v_add_co_u32 v69, vcc_lo, v8, v10
	v_add_co_ci_u32_e32 v70, vcc_lo, v9, v11, vcc_lo
	v_sub_nc_u32_e32 v66, v66, v96
	v_add_co_u32 v10, s13, v10, v102
	s_clause 0x1
	global_load_b128 v[80:83], v[69:70], off slc dlc
	global_load_b128 v[130:133], v[69:70], off offset:512 slc dlc
	v_add_co_ci_u32_e64 v11, s13, v11, v103, s13
	v_cmp_gt_i32_e32 vcc_lo, 1, v66
	s_waitcnt vmcnt(1)
	global_store_b128 v[69:70], v[80:83], off glc slc dlc
	s_waitcnt vmcnt(0)
	global_store_b128 v[69:70], v[130:133], off offset:512 glc slc dlc
	s_or_b32 s11, vcc_lo, s11
	s_delay_alu instid0(SALU_CYCLE_1)
	s_and_not1_b32 exec_lo, exec_lo, s11
	s_cbranch_execnz .LBB2_1047
; %bb.1048:                             ;   in Loop: Header=BB2_917 Depth=3
	s_or_b32 exec_lo, exec_lo, s11
.LBB2_1049:                             ;   in Loop: Header=BB2_917 Depth=3
	s_delay_alu instid0(SALU_CYCLE_1) | instskip(SKIP_3) | instid1(VALU_DEP_1)
	s_or_b32 exec_lo, exec_lo, s5
	v_dual_mov_b32 v10, 0 :: v_dual_lshlrev_b32 v55, 10, v55
	s_mov_b32 s11, 0
	s_mov_b32 s5, exec_lo
                                        ; implicit-def: $vgpr11
                                        ; implicit-def: $vgpr8
	v_cmpx_ne_u32_e64 v2, v55
	s_cbranch_execz .LBB2_1058
; %bb.1050:                             ;   in Loop: Header=BB2_917 Depth=3
	v_lshlrev_b32_e32 v8, 5, v66
	v_sub_nc_u32_e32 v10, v2, v55
	s_mov_b32 s11, exec_lo
	s_delay_alu instid0(VALU_DEP_2) | instskip(NEXT) | instid1(VALU_DEP_2)
	v_sub_nc_u32_e32 v8, v98, v8
	v_ashrrev_i32_e32 v11, 31, v10
	s_delay_alu instid0(VALU_DEP_2) | instskip(NEXT) | instid1(VALU_DEP_2)
	v_ashrrev_i32_e32 v9, 31, v8
	v_lshrrev_b32_e32 v11, 23, v11
	s_delay_alu instid0(VALU_DEP_2) | instskip(NEXT) | instid1(VALU_DEP_2)
	v_lshrrev_b32_e32 v9, 27, v9
	v_add_nc_u32_e32 v11, v10, v11
	s_delay_alu instid0(VALU_DEP_2) | instskip(NEXT) | instid1(VALU_DEP_2)
	v_add_nc_u32_e32 v9, v8, v9
	v_ashrrev_i32_e32 v70, 9, v11
	s_delay_alu instid0(VALU_DEP_2) | instskip(NEXT) | instid1(VALU_DEP_1)
	v_and_b32_e32 v66, 0xffffffe0, v9
	v_sub_nc_u32_e32 v67, v8, v66
	v_and_b32_e32 v66, 0xfffffe00, v11
	v_ashrrev_i32_e32 v8, 5, v9
	s_delay_alu instid0(VALU_DEP_3) | instskip(NEXT) | instid1(VALU_DEP_3)
	v_lshlrev_b32_e32 v9, 4, v67
	v_sub_nc_u32_e32 v69, v10, v66
	s_delay_alu instid0(VALU_DEP_2) | instskip(NEXT) | instid1(VALU_DEP_2)
	v_lshl_add_u32 v11, v8, 9, v9
	v_cmp_lt_i32_e32 vcc_lo, 15, v69
	s_delay_alu instid0(VALU_DEP_2) | instskip(SKIP_1) | instid1(VALU_DEP_1)
	v_sub_nc_u32_e32 v10, v10, v11
	v_add_co_ci_u32_e64 v9, s13, 0, v70, vcc_lo
	v_sub_nc_u32_e32 v70, v9, v8
	s_delay_alu instid0(VALU_DEP_3)
	v_cmpx_lt_i32_e32 15, v10
	s_cbranch_execz .LBB2_1055
; %bb.1051:                             ;   in Loop: Header=BB2_917 Depth=3
	s_cbranch_execnz .LBB2_1959
; %bb.1052:                             ;   in Loop: Header=BB2_917 Depth=3
	ds_load_b64 v[8:9], v0
	v_add_nc_u32_e32 v11, v11, v55
	s_mov_b32 s15, 0
	s_delay_alu instid0(VALU_DEP_1)
	v_ashrrev_i32_e32 v80, 31, v11
.LBB2_1053:                             ;   Parent Loop BB2_55 Depth=1
                                        ;     Parent Loop BB2_915 Depth=2
                                        ;       Parent Loop BB2_917 Depth=3
                                        ; =>      This Inner Loop Header: Depth=4
	s_waitcnt lgkmcnt(0)
	v_add_co_u32 v130, s13, v8, v11
	s_delay_alu instid0(VALU_DEP_1)
	v_add_co_ci_u32_e64 v131, s13, v9, v80, s13
	v_sub_nc_u32_e32 v10, v10, v99
	v_add_co_u32 v11, s14, v11, v114
	global_load_b128 v[81:84], v[130:131], off slc dlc
	v_sub_nc_u32_e32 v70, v70, v96
	v_cmp_gt_i32_e64 s13, 16, v10
	v_add_co_ci_u32_e64 v80, s14, v80, v115, s14
	s_delay_alu instid0(VALU_DEP_2)
	s_or_b32 s15, s13, s15
	s_waitcnt vmcnt(0)
	global_store_b128 v[130:131], v[81:84], off glc slc dlc
	s_and_not1_b32 exec_lo, exec_lo, s15
	s_cbranch_execnz .LBB2_1053
; %bb.1054:                             ;   in Loop: Header=BB2_917 Depth=3
	s_or_b32 exec_lo, exec_lo, s15
.LBB2_1055:                             ;   in Loop: Header=BB2_917 Depth=3
	s_delay_alu instid0(SALU_CYCLE_1) | instskip(SKIP_3) | instid1(VALU_DEP_1)
	s_or_b32 exec_lo, exec_lo, s11
	v_dual_mov_b32 v10, 0 :: v_dual_and_b32 v9, 8, v2
	s_mov_b32 s11, 0
	s_mov_b32 s14, exec_lo
                                        ; implicit-def: $vgpr11
                                        ; implicit-def: $vgpr8
	v_cndmask_b32_e32 v2, v69, v9, vcc_lo
	s_delay_alu instid0(VALU_DEP_1)
	v_cmpx_ne_u32_e32 0, v2
	s_cbranch_execz .LBB2_1057
; %bb.1056:                             ;   in Loop: Header=BB2_917 Depth=3
	v_cmp_lt_i32_e64 s13, 0, v70
	v_sub_nc_u32_e32 v9, v69, v9
	s_mov_b32 s11, exec_lo
	s_delay_alu instid0(VALU_DEP_2) | instskip(NEXT) | instid1(VALU_DEP_2)
	v_cndmask_b32_e64 v8, 0, v96, s13
	v_cndmask_b32_e32 v9, 0, v9, vcc_lo
	s_delay_alu instid0(VALU_DEP_2) | instskip(NEXT) | instid1(VALU_DEP_2)
	v_sub_nc_u32_e32 v8, v8, v70
	v_add3_u32 v10, v66, v55, v9
	s_delay_alu instid0(VALU_DEP_2) | instskip(NEXT) | instid1(VALU_DEP_1)
	v_lshl_add_u32 v11, v8, 5, v67
	v_ashrrev_i32_e32 v8, 31, v11
	s_delay_alu instid0(VALU_DEP_1) | instskip(NEXT) | instid1(VALU_DEP_1)
	v_lshrrev_b32_e32 v8, 27, v8
	v_add_nc_u32_e32 v8, v11, v8
	s_delay_alu instid0(VALU_DEP_1) | instskip(SKIP_1) | instid1(VALU_DEP_2)
	v_and_b32_e32 v67, 0xffffffe0, v8
	v_ashrrev_i32_e32 v8, 5, v8
	v_sub_nc_u32_e32 v11, v11, v67
.LBB2_1057:                             ;   in Loop: Header=BB2_917 Depth=3
	s_or_b32 exec_lo, exec_lo, s14
	s_delay_alu instid0(SALU_CYCLE_1)
	s_and_b32 s11, s11, exec_lo
.LBB2_1058:                             ;   in Loop: Header=BB2_917 Depth=3
	s_or_b32 exec_lo, exec_lo, s5
.LBB2_1059:                             ;   in Loop: Header=BB2_917 Depth=3
	s_and_saveexec_b32 s5, s11
	s_cbranch_execz .LBB2_1071
; %bb.1060:                             ;   in Loop: Header=BB2_917 Depth=3
	v_ashrrev_i32_e32 v9, 31, v2
	v_lshlrev_b32_e32 v66, 3, v11
	s_mov_b32 s11, exec_lo
	s_delay_alu instid0(VALU_DEP_2) | instskip(NEXT) | instid1(VALU_DEP_2)
	v_lshrrev_b32_e32 v9, 24, v9
	v_lshl_add_u32 v70, v8, 8, v66
	s_delay_alu instid0(VALU_DEP_2) | instskip(NEXT) | instid1(VALU_DEP_2)
	v_add_nc_u32_e32 v9, v2, v9
	v_sub_nc_u32_e32 v69, v2, v70
	s_delay_alu instid0(VALU_DEP_2) | instskip(SKIP_1) | instid1(VALU_DEP_2)
	v_and_b32_e32 v55, 0xffffff00, v9
	v_ashrrev_i32_e32 v9, 8, v9
	v_sub_nc_u32_e32 v66, v2, v55
	s_delay_alu instid0(VALU_DEP_2) | instskip(NEXT) | instid1(VALU_DEP_2)
	v_sub_nc_u32_e32 v8, v9, v8
	v_cmp_lt_i32_e32 vcc_lo, 7, v66
	s_delay_alu instid0(VALU_DEP_2)
	v_add_co_ci_u32_e64 v67, s13, 0, v8, vcc_lo
	v_cmpx_lt_i32_e32 7, v69
	s_cbranch_execz .LBB2_1065
; %bb.1061:                             ;   in Loop: Header=BB2_917 Depth=3
	s_cbranch_execnz .LBB2_1919
; %bb.1062:                             ;   in Loop: Header=BB2_917 Depth=3
	ds_load_b64 v[8:9], v0
	v_add_nc_u32_e32 v70, v70, v10
	s_mov_b32 s15, 0
	s_delay_alu instid0(VALU_DEP_1)
	v_ashrrev_i32_e32 v80, 31, v70
.LBB2_1063:                             ;   Parent Loop BB2_55 Depth=1
                                        ;     Parent Loop BB2_915 Depth=2
                                        ;       Parent Loop BB2_917 Depth=3
                                        ; =>      This Inner Loop Header: Depth=4
	s_waitcnt lgkmcnt(0)
	v_add_co_u32 v81, s13, v8, v70
	s_delay_alu instid0(VALU_DEP_1)
	v_add_co_ci_u32_e64 v82, s13, v9, v80, s13
	v_sub_nc_u32_e32 v69, v69, v101
	v_add_co_u32 v70, s14, v70, v117
	flat_load_b64 v[83:84], v[81:82] slc dlc
	v_sub_nc_u32_e32 v67, v67, v96
	v_cmp_gt_i32_e64 s13, 8, v69
	v_add_co_ci_u32_e64 v80, s14, v80, v118, s14
	s_delay_alu instid0(VALU_DEP_2)
	s_or_b32 s15, s13, s15
	s_waitcnt vmcnt(0) lgkmcnt(0)
	flat_store_b64 v[81:82], v[83:84] glc slc dlc
	s_and_not1_b32 exec_lo, exec_lo, s15
	s_cbranch_execnz .LBB2_1063
; %bb.1064:                             ;   in Loop: Header=BB2_917 Depth=3
	s_or_b32 exec_lo, exec_lo, s15
.LBB2_1065:                             ;   in Loop: Header=BB2_917 Depth=3
	s_delay_alu instid0(SALU_CYCLE_1) | instskip(SKIP_2) | instid1(VALU_DEP_1)
	s_or_b32 exec_lo, exec_lo, s11
	v_and_b32_e32 v8, 7, v2
	s_mov_b32 s11, exec_lo
	v_cndmask_b32_e32 v2, v66, v8, vcc_lo
	s_delay_alu instid0(VALU_DEP_1)
	v_cmpx_ne_u32_e32 0, v2
	s_cbranch_execz .LBB2_1070
; %bb.1066:                             ;   in Loop: Header=BB2_917 Depth=3
	v_cmp_lt_i32_e64 s13, 0, v67
	s_delay_alu instid0(VALU_DEP_1) | instskip(NEXT) | instid1(VALU_DEP_1)
	v_cndmask_b32_e64 v9, 0, v96, s13
	v_sub_nc_u32_e32 v9, v9, v67
	s_delay_alu instid0(VALU_DEP_1) | instskip(NEXT) | instid1(VALU_DEP_1)
	v_lshl_add_u32 v9, v9, 5, v11
	v_ashrrev_i32_e32 v11, 31, v9
	s_delay_alu instid0(VALU_DEP_1) | instskip(NEXT) | instid1(VALU_DEP_1)
	v_lshrrev_b32_e32 v11, 27, v11
	v_add_nc_u32_e32 v11, v9, v11
	s_delay_alu instid0(VALU_DEP_1) | instskip(SKIP_1) | instid1(VALU_DEP_2)
	v_and_b32_e32 v67, 0x1fffffe0, v11
	v_lshlrev_b32_e32 v11, 3, v11
	v_sub_nc_u32_e32 v9, v9, v67
	s_delay_alu instid0(VALU_DEP_2) | instskip(NEXT) | instid1(VALU_DEP_1)
	v_and_b32_e32 v11, 0xffffff00, v11
	v_lshl_add_u32 v11, v9, 3, v11
	s_delay_alu instid0(VALU_DEP_1) | instskip(NEXT) | instid1(VALU_DEP_1)
	v_sub_nc_u32_e32 v2, v2, v11
	v_cmp_lt_i32_e64 s13, 7, v2
	s_delay_alu instid0(VALU_DEP_1)
	s_and_b32 exec_lo, exec_lo, s13
	s_cbranch_execz .LBB2_1070
; %bb.1067:                             ;   in Loop: Header=BB2_917 Depth=3
	s_cbranch_execnz .LBB2_1955
; %bb.1068:                             ;   in Loop: Header=BB2_917 Depth=3
	v_sub_nc_u32_e32 v66, v66, v8
	ds_load_b64 v[8:9], v0
	v_add_nc_u32_e32 v10, v55, v10
	s_mov_b32 s14, 0
	v_cndmask_b32_e32 v55, 0, v66, vcc_lo
	s_delay_alu instid0(VALU_DEP_1) | instskip(NEXT) | instid1(VALU_DEP_1)
	v_add3_u32 v10, v10, v55, v11
	v_ashrrev_i32_e32 v11, 31, v10
.LBB2_1069:                             ;   Parent Loop BB2_55 Depth=1
                                        ;     Parent Loop BB2_915 Depth=2
                                        ;       Parent Loop BB2_917 Depth=3
                                        ; =>      This Inner Loop Header: Depth=4
	s_waitcnt lgkmcnt(0)
	v_add_co_u32 v66, vcc_lo, v8, v10
	s_delay_alu instid0(VALU_DEP_2)
	v_add_co_ci_u32_e32 v67, vcc_lo, v9, v11, vcc_lo
	v_sub_nc_u32_e32 v2, v2, v101
	v_add_co_u32 v10, s13, v10, v117
	flat_load_b64 v[69:70], v[66:67] slc dlc
	v_add_co_ci_u32_e64 v11, s13, v11, v118, s13
	v_cmp_gt_i32_e32 vcc_lo, 8, v2
	s_or_b32 s14, vcc_lo, s14
	s_waitcnt vmcnt(0) lgkmcnt(0)
	flat_store_b64 v[66:67], v[69:70] glc slc dlc
	s_and_not1_b32 exec_lo, exec_lo, s14
	s_cbranch_execnz .LBB2_1069
.LBB2_1070:                             ;   in Loop: Header=BB2_917 Depth=3
	s_or_b32 exec_lo, exec_lo, s11
.LBB2_1071:                             ;   in Loop: Header=BB2_917 Depth=3
	s_delay_alu instid0(SALU_CYCLE_1)
	s_or_b32 exec_lo, exec_lo, s5
.LBB2_1072:                             ;   in Loop: Header=BB2_917 Depth=3
	s_and_saveexec_b32 s5, s3
	s_cbranch_execz .LBB2_1094
; %bb.1073:                             ;   in Loop: Header=BB2_917 Depth=3
	s_and_saveexec_b32 s11, s4
	s_delay_alu instid0(SALU_CYCLE_1)
	s_xor_b32 s11, exec_lo, s11
	s_cbranch_execz .LBB2_1091
; %bb.1074:                             ;   in Loop: Header=BB2_917 Depth=3
	s_and_saveexec_b32 s13, s1
	s_cbranch_execz .LBB2_1090
; %bb.1075:                             ;   in Loop: Header=BB2_917 Depth=3
	s_mov_b32 s15, exec_lo
	s_mov_b32 s14, exec_lo
	v_mbcnt_lo_u32_b32 v2, s15, 0
	s_waitcnt lgkmcnt(0)
	s_waitcnt_vscnt null, 0x0
	buffer_gl1_inv
	buffer_gl0_inv
	v_cmpx_eq_u32_e32 0, v2
	s_cbranch_execz .LBB2_1077
; %bb.1076:                             ;   in Loop: Header=BB2_917 Depth=3
	s_bcnt1_i32_b32 s15, s15
	s_delay_alu instid0(SALU_CYCLE_1)
	v_mov_b32_e32 v2, s15
	ds_add_u64 v0, v[2:3]
	s_cbranch_execnz .LBB2_1903
.LBB2_1077:                             ;   in Loop: Header=BB2_917 Depth=3
	s_or_b32 exec_lo, exec_lo, s14
	s_cbranch_execnz .LBB2_1881
; %bb.1078:                             ;   in Loop: Header=BB2_917 Depth=3
	ds_load_b64 v[8:9], v0
	v_add_co_u32 v12, vcc_lo, v12, v96
	v_add_co_ci_u32_e32 v13, vcc_lo, 0, v13, vcc_lo
	s_mov_b32 s14, exec_lo
	s_waitcnt lgkmcnt(0)
	s_delay_alu instid0(VALU_DEP_1)
	v_cmpx_lt_u64_e64 v[8:9], v[12:13]
	s_cbranch_execz .LBB2_1089
; %bb.1079:                             ;   in Loop: Header=BB2_917 Depth=3
	s_mov_b32 s15, 0
	s_mov_b32 vcc_hi, 0
                                        ; implicit-def: $sgpr17
                                        ; implicit-def: $sgpr26
	s_branch .LBB2_1081
.LBB2_1080:                             ;   in Loop: Header=BB2_1081 Depth=4
	s_or_b32 exec_lo, exec_lo, s37
	s_delay_alu instid0(SALU_CYCLE_1) | instskip(NEXT) | instid1(SALU_CYCLE_1)
	s_and_b32 vcc_lo, exec_lo, vcc_lo
	s_or_b32 s15, vcc_lo, s15
	s_and_not1_b32 s17, s17, exec_lo
	s_and_b32 vcc_lo, s26, exec_lo
	s_delay_alu instid0(SALU_CYCLE_1)
	s_or_b32 s17, s17, vcc_lo
	s_and_not1_b32 exec_lo, exec_lo, s15
	s_cbranch_execz .LBB2_1087
.LBB2_1081:                             ;   Parent Loop BB2_55 Depth=1
                                        ;     Parent Loop BB2_915 Depth=2
                                        ;       Parent Loop BB2_917 Depth=3
                                        ; =>      This Inner Loop Header: Depth=4
	s_add_i32 vcc_hi, vcc_hi, 1
                                        ; implicit-def: $sgpr37
	s_delay_alu instid0(SALU_CYCLE_1) | instskip(SKIP_1) | instid1(SALU_CYCLE_1)
	s_cmpk_lg_i32 vcc_hi, 0x2710
	s_cselect_b32 s36, -1, 0
	s_and_b32 vcc_lo, exec_lo, s36
	s_cbranch_vccz .LBB2_1085
.LBB2_1082:                             ;   in Loop: Header=BB2_1081 Depth=4
	s_and_not1_b32 s26, s26, exec_lo
	s_and_b32 s37, s37, exec_lo
	s_mov_b32 vcc_lo, -1
	s_or_b32 s26, s26, s37
	s_and_saveexec_b32 s37, s36
	s_cbranch_execz .LBB2_1080
; %bb.1083:                             ;   in Loop: Header=BB2_1081 Depth=4
	s_sleep 1
	s_cbranch_execnz .LBB2_1935
; %bb.1084:                             ;   in Loop: Header=BB2_1081 Depth=4
	ds_load_b64 v[8:9], v0
	s_and_not1_b32 s26, s26, exec_lo
	s_waitcnt lgkmcnt(0)
	v_cmp_ge_u64_e32 vcc_lo, v[8:9], v[12:13]
	s_or_not1_b32 vcc_lo, vcc_lo, exec_lo
	s_branch .LBB2_1080
.LBB2_1085:                             ;   in Loop: Header=BB2_1081 Depth=4
	s_cbranch_execnz .LBB2_1943
; %bb.1086:                             ;   in Loop: Header=BB2_1081 Depth=4
	ds_load_b64 v[8:9], v0
	s_and_not1_b32 s36, s36, exec_lo
	s_mov_b32 s37, -1
	s_waitcnt lgkmcnt(0)
	flat_load_b32 v2, v[8:9] glc
	s_waitcnt vmcnt(0) lgkmcnt(0)
	buffer_gl1_inv
	buffer_gl0_inv
	v_cmp_eq_u32_e32 vcc_lo, 0, v2
	s_mov_b32 vcc_hi, 0
	s_and_b32 vcc_lo, vcc_lo, exec_lo
	s_delay_alu instid0(SALU_CYCLE_1)
	s_or_b32 s36, s36, vcc_lo
	s_branch .LBB2_1082
.LBB2_1087:                             ;   in Loop: Header=BB2_917 Depth=3
	s_or_b32 exec_lo, exec_lo, s15
	s_and_saveexec_b32 s15, s17
	s_delay_alu instid0(SALU_CYCLE_1)
	s_xor_b32 s15, exec_lo, s15
	s_cbranch_execz .LBB2_1089
; %bb.1088:                             ;   in Loop: Header=BB2_917 Depth=3
	ds_store_b32 v0, v129
	s_cbranch_execnz .LBB2_1989
.LBB2_1089:                             ;   in Loop: Header=BB2_917 Depth=3
	s_or_b32 exec_lo, exec_lo, s14
	;;#ASMSTART
	s_wakeup
	;;#ASMEND
.LBB2_1090:                             ;   in Loop: Header=BB2_917 Depth=3
	s_or_b32 exec_lo, exec_lo, s13
.LBB2_1091:                             ;   in Loop: Header=BB2_917 Depth=3
	s_and_not1_saveexec_b32 s11, s11
	s_cbranch_execz .LBB2_1093
; %bb.1092:                             ;   in Loop: Header=BB2_917 Depth=3
	s_waitcnt lgkmcnt(0)
	s_waitcnt_vscnt null, 0x0
	buffer_gl1_inv
	buffer_gl0_inv
	s_barrier
.LBB2_1093:                             ;   in Loop: Header=BB2_917 Depth=3
	s_or_b32 exec_lo, exec_lo, s11
.LBB2_1094:                             ;   in Loop: Header=BB2_917 Depth=3
	s_delay_alu instid0(SALU_CYCLE_1) | instskip(SKIP_1) | instid1(SALU_CYCLE_1)
	s_or_b32 exec_lo, exec_lo, s5
                                        ; implicit-def: $vgpr2
	s_and_saveexec_b32 s5, s7
	s_xor_b32 s5, exec_lo, s5
	s_cbranch_execz .LBB2_1098
; %bb.1095:                             ;   in Loop: Header=BB2_917 Depth=3
	v_and_b32_e32 v2, 16, v30
	v_cmp_lt_i32_e32 vcc_lo, 0, v53
	s_delay_alu instid0(VALU_DEP_2) | instskip(SKIP_1) | instid1(VALU_DEP_2)
	v_cmp_ne_u32_e64 s13, 0, v2
	v_and_b32_e32 v2, 16, v30
	s_and_b32 s13, s13, vcc_lo
	s_delay_alu instid0(SALU_CYCLE_1)
	s_and_saveexec_b32 s11, s13
	s_cbranch_execz .LBB2_1097
; %bb.1096:                             ;   in Loop: Header=BB2_917 Depth=3
	v_mov_b32_e32 v2, 1
	s_waitcnt lgkmcnt(0)
	s_waitcnt_vscnt null, 0x0
	buffer_gl1_inv
	buffer_gl0_inv
.LBB2_1097:                             ;   in Loop: Header=BB2_917 Depth=3
	s_or_b32 exec_lo, exec_lo, s11
.LBB2_1098:                             ;   in Loop: Header=BB2_917 Depth=3
	s_and_not1_saveexec_b32 s5, s5
	s_cbranch_execz .LBB2_1120
; %bb.1099:                             ;   in Loop: Header=BB2_917 Depth=3
	s_and_saveexec_b32 s11, s4
	s_delay_alu instid0(SALU_CYCLE_1)
	s_xor_b32 s11, exec_lo, s11
	s_cbranch_execz .LBB2_1117
; %bb.1100:                             ;   in Loop: Header=BB2_917 Depth=3
	s_and_saveexec_b32 s13, s1
	s_cbranch_execz .LBB2_1116
; %bb.1101:                             ;   in Loop: Header=BB2_917 Depth=3
	s_mov_b32 s15, exec_lo
	s_mov_b32 s14, exec_lo
	v_mbcnt_lo_u32_b32 v2, s15, 0
	;;#ASMSTART
	s_waitcnt lgkmcnt(0) vmcnt(0)
	;;#ASMEND
	s_delay_alu instid0(VALU_DEP_1)
	v_cmpx_eq_u32_e32 0, v2
	s_cbranch_execz .LBB2_1103
; %bb.1102:                             ;   in Loop: Header=BB2_917 Depth=3
	s_bcnt1_i32_b32 s15, s15
	s_delay_alu instid0(SALU_CYCLE_1)
	v_mov_b32_e32 v2, s15
	ds_add_u64 v0, v[2:3]
	s_cbranch_execnz .LBB2_1905
.LBB2_1103:                             ;   in Loop: Header=BB2_917 Depth=3
	s_or_b32 exec_lo, exec_lo, s14
	s_cbranch_execnz .LBB2_1885
; %bb.1104:                             ;   in Loop: Header=BB2_917 Depth=3
	ds_load_b64 v[8:9], v0
	v_add_co_u32 v12, vcc_lo, v12, v96
	v_add_co_ci_u32_e32 v13, vcc_lo, 0, v13, vcc_lo
	s_mov_b32 s14, exec_lo
	s_waitcnt lgkmcnt(0)
	s_delay_alu instid0(VALU_DEP_1)
	v_cmpx_lt_u64_e64 v[8:9], v[12:13]
	s_cbranch_execz .LBB2_1115
; %bb.1105:                             ;   in Loop: Header=BB2_917 Depth=3
	s_mov_b32 s15, 0
	s_mov_b32 vcc_hi, 0
                                        ; implicit-def: $sgpr17
                                        ; implicit-def: $sgpr26
	s_branch .LBB2_1107
.LBB2_1106:                             ;   in Loop: Header=BB2_1107 Depth=4
	s_or_b32 exec_lo, exec_lo, s37
	s_delay_alu instid0(SALU_CYCLE_1) | instskip(NEXT) | instid1(SALU_CYCLE_1)
	s_and_b32 vcc_lo, exec_lo, vcc_lo
	s_or_b32 s15, vcc_lo, s15
	s_and_not1_b32 s17, s17, exec_lo
	s_and_b32 vcc_lo, s26, exec_lo
	s_delay_alu instid0(SALU_CYCLE_1)
	s_or_b32 s17, s17, vcc_lo
	s_and_not1_b32 exec_lo, exec_lo, s15
	s_cbranch_execz .LBB2_1113
.LBB2_1107:                             ;   Parent Loop BB2_55 Depth=1
                                        ;     Parent Loop BB2_915 Depth=2
                                        ;       Parent Loop BB2_917 Depth=3
                                        ; =>      This Inner Loop Header: Depth=4
	s_add_i32 vcc_hi, vcc_hi, 1
                                        ; implicit-def: $sgpr37
	s_delay_alu instid0(SALU_CYCLE_1) | instskip(SKIP_1) | instid1(SALU_CYCLE_1)
	s_cmpk_lg_i32 vcc_hi, 0x2710
	s_cselect_b32 s36, -1, 0
	s_and_b32 vcc_lo, exec_lo, s36
	s_cbranch_vccnz .LBB2_1110
; %bb.1108:                             ;   in Loop: Header=BB2_1107 Depth=4
	s_cbranch_execnz .LBB2_1947
; %bb.1109:                             ;   in Loop: Header=BB2_1107 Depth=4
	ds_load_b64 v[8:9], v0
	s_and_not1_b32 s36, s36, exec_lo
	s_mov_b32 s37, -1
	s_waitcnt lgkmcnt(0)
	s_waitcnt_vscnt null, 0x0
	flat_load_b32 v2, v[8:9] glc
	s_waitcnt vmcnt(0) lgkmcnt(0)
	buffer_gl1_inv
	buffer_gl0_inv
	v_cmp_eq_u32_e32 vcc_lo, 0, v2
	s_mov_b32 vcc_hi, 0
	s_and_b32 vcc_lo, vcc_lo, exec_lo
	s_delay_alu instid0(SALU_CYCLE_1)
	s_or_b32 s36, s36, vcc_lo
.LBB2_1110:                             ;   in Loop: Header=BB2_1107 Depth=4
	s_and_not1_b32 s26, s26, exec_lo
	s_and_b32 s37, s37, exec_lo
	s_mov_b32 vcc_lo, -1
	s_or_b32 s26, s26, s37
	s_and_saveexec_b32 s37, s36
	s_cbranch_execz .LBB2_1106
; %bb.1111:                             ;   in Loop: Header=BB2_1107 Depth=4
	s_sleep 1
	s_cbranch_execnz .LBB2_1941
; %bb.1112:                             ;   in Loop: Header=BB2_1107 Depth=4
	ds_load_b64 v[8:9], v0
	s_and_not1_b32 s26, s26, exec_lo
	s_waitcnt lgkmcnt(0)
	v_cmp_ge_u64_e32 vcc_lo, v[8:9], v[12:13]
	s_or_not1_b32 vcc_lo, vcc_lo, exec_lo
	s_branch .LBB2_1106
.LBB2_1113:                             ;   in Loop: Header=BB2_917 Depth=3
	s_or_b32 exec_lo, exec_lo, s15
	s_and_saveexec_b32 s15, s17
	s_delay_alu instid0(SALU_CYCLE_1)
	s_xor_b32 s15, exec_lo, s15
	s_cbranch_execz .LBB2_1115
; %bb.1114:                             ;   in Loop: Header=BB2_917 Depth=3
	ds_store_b32 v0, v129
	s_cbranch_execnz .LBB2_1991
.LBB2_1115:                             ;   in Loop: Header=BB2_917 Depth=3
	s_or_b32 exec_lo, exec_lo, s14
	;;#ASMSTART
	s_wakeup
	;;#ASMEND
.LBB2_1116:                             ;   in Loop: Header=BB2_917 Depth=3
	s_or_b32 exec_lo, exec_lo, s13
.LBB2_1117:                             ;   in Loop: Header=BB2_917 Depth=3
	s_and_not1_saveexec_b32 s11, s11
	s_cbranch_execz .LBB2_1119
; %bb.1118:                             ;   in Loop: Header=BB2_917 Depth=3
	;;#ASMSTART
	s_waitcnt lgkmcnt(0) vmcnt(0)
	;;#ASMEND
	s_waitcnt lgkmcnt(0)
	s_waitcnt_vscnt null, 0x0
	s_barrier
.LBB2_1119:                             ;   in Loop: Header=BB2_917 Depth=3
	s_or_b32 exec_lo, exec_lo, s11
	v_and_b32_e32 v2, 16, v30
.LBB2_1120:                             ;   in Loop: Header=BB2_917 Depth=3
	s_or_b32 exec_lo, exec_lo, s5
	s_delay_alu instid0(VALU_DEP_1) | instskip(SKIP_1) | instid1(SALU_CYCLE_1)
	v_cmp_ne_u32_e32 vcc_lo, 0, v2
	s_xor_b32 s5, s6, -1
	s_and_b32 s11, vcc_lo, s5
	s_delay_alu instid0(SALU_CYCLE_1)
	s_and_saveexec_b32 s5, s11
	s_cbranch_execz .LBB2_1122
; %bb.1121:                             ;   in Loop: Header=BB2_917 Depth=3
	s_waitcnt lgkmcnt(0)
	s_waitcnt_vscnt null, 0x0
	flat_store_b32 v[26:27], v129
.LBB2_1122:                             ;   in Loop: Header=BB2_917 Depth=3
	s_or_b32 exec_lo, exec_lo, s5
	v_and_b32_e32 v2, 48, v30
	s_mov_b32 s5, exec_lo
	s_delay_alu instid0(VALU_DEP_1)
	v_cmpx_ne_u32_e32 0, v2
	s_cbranch_execz .LBB2_1124
; %bb.1123:                             ;   in Loop: Header=BB2_917 Depth=3
	v_add_co_u32 v22, vcc_lo, v22, 2
	v_add_co_ci_u32_e32 v23, vcc_lo, 0, v23, vcc_lo
	s_waitcnt lgkmcnt(0)
	s_waitcnt_vscnt null, 0x0
	flat_store_b64 v[20:21], v[22:23]
.LBB2_1124:                             ;   in Loop: Header=BB2_917 Depth=3
	s_or_b32 exec_lo, exec_lo, s5
	v_add_nc_u32_e32 v54, v52, v54
	s_xor_b32 s5, s34, -1
	v_mov_b32_e32 v2, s35
	s_mov_b32 s34, 0
	s_mov_b32 s35, 2
	v_cmp_ge_i32_e32 vcc_lo, v54, v68
	s_or_b32 s5, s5, vcc_lo
	s_delay_alu instid0(SALU_CYCLE_1) | instskip(NEXT) | instid1(SALU_CYCLE_1)
	s_and_b32 s5, exec_lo, s5
	s_or_b32 s31, s5, s31
	s_delay_alu instid0(SALU_CYCLE_1)
	s_and_not1_b32 exec_lo, exec_lo, s31
	s_cbranch_execnz .LBB2_917
; %bb.1125:                             ;   in Loop: Header=BB2_915 Depth=2
	s_or_b32 exec_lo, exec_lo, s31
.LBB2_1126:                             ;   in Loop: Header=BB2_915 Depth=2
	s_delay_alu instid0(SALU_CYCLE_1) | instskip(NEXT) | instid1(SALU_CYCLE_1)
	s_or_b32 exec_lo, exec_lo, s30
	s_mov_b32 s14, exec_lo
	v_cmpx_gt_i32_e32 2, v2
	s_cbranch_execz .LBB2_1210
; %bb.1127:                             ;   in Loop: Header=BB2_915 Depth=2
	v_cmp_eq_u32_e64 s5, 0, v2
	s_mov_b32 s15, 0
.LBB2_1128:                             ;   Parent Loop BB2_55 Depth=1
                                        ;     Parent Loop BB2_915 Depth=2
                                        ; =>    This Loop Header: Depth=3
                                        ;         Child Loop BB2_1134 Depth 4
                                        ;         Child Loop BB2_1164 Depth 4
	;; [unrolled: 1-line block ×3, first 2 shown]
	v_and_b32_e32 v2, 12, v30
	s_mov_b32 s13, -1
	s_mov_b32 s11, exec_lo
	s_delay_alu instid0(VALU_DEP_1)
	v_cmpx_ne_u32_e32 0, v2
	s_cbranch_execz .LBB2_1142
; %bb.1129:                             ;   in Loop: Header=BB2_1128 Depth=3
	v_and_b32_e32 v2, 8, v30
	s_delay_alu instid0(VALU_DEP_1) | instskip(SKIP_3) | instid1(VALU_DEP_1)
	v_add_co_u32 v10, vcc_lo, v28, v2
	v_add_co_ci_u32_e32 v11, vcc_lo, 0, v29, vcc_lo
	v_add_co_u32 v8, vcc_lo, v22, 2
	v_add_co_ci_u32_e32 v9, vcc_lo, 0, v23, vcc_lo
	v_cmp_lt_u64_e32 vcc_lo, v[10:11], v[8:9]
	v_mov_b32_e32 v10, 1
	s_and_saveexec_b32 s13, vcc_lo
	s_cbranch_execz .LBB2_1141
; %bb.1130:                             ;   in Loop: Header=BB2_1128 Depth=3
	v_mov_b32_e32 v10, 0
	s_mov_b32 s17, 0
                                        ; implicit-def: $sgpr26
	s_branch .LBB2_1134
.LBB2_1131:                             ;   in Loop: Header=BB2_1134 Depth=4
	s_or_b32 exec_lo, exec_lo, s34
	v_mov_b32_e32 v11, 0
	s_or_not1_b32 s31, s31, exec_lo
.LBB2_1132:                             ;   in Loop: Header=BB2_1134 Depth=4
	s_or_b32 exec_lo, exec_lo, s30
	s_delay_alu instid0(VALU_DEP_1) | instskip(SKIP_2) | instid1(SALU_CYCLE_1)
	v_mov_b32_e32 v10, v11
	s_and_not1_b32 s26, s26, exec_lo
	s_and_b32 vcc_lo, s31, exec_lo
	s_or_b32 s26, s26, vcc_lo
.LBB2_1133:                             ;   in Loop: Header=BB2_1134 Depth=4
	s_or_b32 exec_lo, exec_lo, vcc_hi
	s_waitcnt vmcnt(0) lgkmcnt(0)
	v_add_co_u32 v64, vcc_lo, v28, v2
	v_add_co_ci_u32_e32 v65, vcc_lo, 0, v29, vcc_lo
	s_delay_alu instid0(VALU_DEP_1) | instskip(SKIP_1) | instid1(SALU_CYCLE_1)
	v_cmp_ge_u64_e32 vcc_lo, v[64:65], v[8:9]
	s_xor_b32 vcc_hi, s26, -1
	s_or_b32 vcc_lo, vcc_hi, vcc_lo
	s_delay_alu instid0(SALU_CYCLE_1) | instskip(NEXT) | instid1(SALU_CYCLE_1)
	s_and_b32 vcc_lo, exec_lo, vcc_lo
	s_or_b32 s17, vcc_lo, s17
	s_delay_alu instid0(SALU_CYCLE_1)
	s_and_not1_b32 exec_lo, exec_lo, s17
	s_cbranch_execz .LBB2_1140
.LBB2_1134:                             ;   Parent Loop BB2_55 Depth=1
                                        ;     Parent Loop BB2_915 Depth=2
                                        ;       Parent Loop BB2_1128 Depth=3
                                        ; =>      This Inner Loop Header: Depth=4
	s_sleep 1
	flat_load_b64 v[28:29], v[20:21] glc
	v_and_b32_e32 v11, 64, v30
	s_and_not1_b32 s26, s26, exec_lo
	s_mov_b32 vcc_hi, exec_lo
	s_delay_alu instid0(VALU_DEP_1)
	v_cmpx_eq_u32_e32 0, v11
	s_cbranch_execz .LBB2_1133
; %bb.1135:                             ;   in Loop: Header=BB2_1134 Depth=4
	v_add_nc_u32_e32 v11, 1, v10
	s_mov_b32 s31, -1
	s_mov_b32 s30, exec_lo
	v_cmpx_lt_i32_e32 0x270e, v10
	s_cbranch_execz .LBB2_1132
; %bb.1136:                             ;   in Loop: Header=BB2_1134 Depth=4
	s_cbranch_execnz .LBB2_1649
; %bb.1137:                             ;   in Loop: Header=BB2_1134 Depth=4
	ds_load_b64 v[10:11], v0
	s_mov_b32 s34, exec_lo
	s_waitcnt vmcnt(0) lgkmcnt(0)
	s_waitcnt_vscnt null, 0x0
	flat_load_b32 v10, v[10:11] glc
	s_waitcnt vmcnt(0) lgkmcnt(0)
	buffer_gl1_inv
	buffer_gl0_inv
	v_cmpx_ne_u32_e32 0, v10
	s_cbranch_execz .LBB2_1131
; %bb.1138:                             ;   in Loop: Header=BB2_1134 Depth=4
	ds_store_b32 v0, v10
	s_cbranch_execnz .LBB2_1733
; %bb.1139:                             ;   in Loop: Header=BB2_1134 Depth=4
	v_or_b32_e32 v30, 64, v30
	s_xor_b32 s31, exec_lo, -1
	s_branch .LBB2_1131
.LBB2_1140:                             ;   in Loop: Header=BB2_1128 Depth=3
	s_or_b32 exec_lo, exec_lo, s17
	v_and_b32_e32 v10, 12, v30
.LBB2_1141:                             ;   in Loop: Header=BB2_1128 Depth=3
	s_or_b32 exec_lo, exec_lo, s13
	s_delay_alu instid0(VALU_DEP_1)
	v_cmp_eq_u32_e32 vcc_lo, 0, v10
	;;#ASMSTART
	s_wakeup
	;;#ASMEND
	s_or_not1_b32 s13, vcc_lo, exec_lo
.LBB2_1142:                             ;   in Loop: Header=BB2_1128 Depth=3
	s_or_b32 exec_lo, exec_lo, s11
	v_sub_nc_u32_e32 v2, v68, v54
	s_xor_b32 s5, s5, -1
	s_delay_alu instid0(SALU_CYCLE_1) | instskip(NEXT) | instid1(SALU_CYCLE_1)
	s_and_b32 s5, exec_lo, s5
	s_or_b32 s15, s5, s15
	s_delay_alu instid0(VALU_DEP_1) | instskip(SKIP_1) | instid1(SALU_CYCLE_1)
	v_min_i32_e32 v52, v52, v2
	s_xor_b32 s11, s13, -1
	s_and_saveexec_b32 s5, s11
	s_cbranch_execz .LBB2_1155
; %bb.1143:                             ;   in Loop: Header=BB2_1128 Depth=3
	v_and_b32_e32 v2, 0x108, v30
	s_delay_alu instid0(VALU_DEP_1) | instskip(SKIP_2) | instid1(SALU_CYCLE_1)
	v_cmp_ne_u32_e32 vcc_lo, 0x108, v2
	v_and_b32_e32 v2, 7, v22
	s_and_saveexec_b32 s11, vcc_lo
	s_xor_b32 s11, exec_lo, s11
	s_delay_alu instid0(SALU_CYCLE_1)
	s_and_not1_saveexec_b32 s11, s11
	s_cbranch_execz .LBB2_1145
; %bb.1144:                             ;   in Loop: Header=BB2_1128 Depth=3
	v_ashrrev_i32_e32 v53, 31, v52
	v_mad_u64_u32 v[8:9], null, v2, 24, v[6:7]
	s_delay_alu instid0(VALU_DEP_2)
	v_lshlrev_b64 v[10:11], 3, v[52:53]
	flat_store_b64 v[8:9], v[10:11] offset:8
.LBB2_1145:                             ;   in Loop: Header=BB2_1128 Depth=3
	s_or_b32 exec_lo, exec_lo, s11
	v_and_b32_e32 v8, 0x100, v30
	s_mov_b32 s13, -1
	s_delay_alu instid0(VALU_DEP_1)
	v_cmp_ne_u32_e32 vcc_lo, 0, v8
                                        ; implicit-def: $vgpr8_vgpr9
	s_and_saveexec_b32 s11, vcc_lo
	s_cbranch_execz .LBB2_1150
; %bb.1146:                             ;   in Loop: Header=BB2_1128 Depth=3
	v_mad_u64_u32 v[10:11], null, v2, 24, v[6:7]
	s_delay_alu instid0(VALU_DEP_1) | instskip(NEXT) | instid1(VALU_DEP_1)
	v_mov_b32_e32 v8, v11
	v_mad_u64_u32 v[64:65], null, v3, 24, v[8:9]
	s_delay_alu instid0(VALU_DEP_1) | instskip(SKIP_4) | instid1(VALU_DEP_1)
	v_mov_b32_e32 v11, v64
	flat_load_b32 v8, v[10:11]
	s_waitcnt vmcnt(0) lgkmcnt(0)
	v_cmp_ne_u32_e32 vcc_lo, 1, v8
	v_cmp_eq_u32_e64 s13, 1, v8
                                        ; implicit-def: $vgpr8_vgpr9
	s_and_saveexec_b32 s17, s13
	s_cbranch_execz .LBB2_1148
; %bb.1147:                             ;   in Loop: Header=BB2_1128 Depth=3
	flat_load_b32 v8, v[10:11] offset:4 glc
	s_waitcnt vmcnt(0) lgkmcnt(0)
	v_ashrrev_i32_e32 v9, 31, v8
	s_delay_alu instid0(VALU_DEP_1)
	v_lshrrev_b64 v[8:9], 3, v[8:9]
.LBB2_1148:                             ;   in Loop: Header=BB2_1128 Depth=3
	s_or_b32 exec_lo, exec_lo, s17
	s_delay_alu instid0(SALU_CYCLE_1)
	s_or_not1_b32 s13, vcc_lo, exec_lo
	s_or_b32 exec_lo, exec_lo, s11
	s_and_saveexec_b32 s11, s13
	s_cbranch_execnz .LBB2_1151
.LBB2_1149:                             ;   in Loop: Header=BB2_1128 Depth=3
	s_or_b32 exec_lo, exec_lo, s11
	s_cbranch_execz .LBB2_1152
	s_branch .LBB2_1639
.LBB2_1150:                             ;   in Loop: Header=BB2_1128 Depth=3
	s_or_b32 exec_lo, exec_lo, s11
	s_and_saveexec_b32 s11, s13
	s_cbranch_execz .LBB2_1149
.LBB2_1151:                             ;   in Loop: Header=BB2_1128 Depth=3
	v_mul_lo_u32 v10, v3, v86
	v_mul_lo_u32 v11, v2, v87
	v_mad_u64_u32 v[8:9], null, v2, v86, 0
	s_delay_alu instid0(VALU_DEP_1)
	v_add3_u32 v9, v9, v11, v10
	s_or_b32 exec_lo, exec_lo, s11
	s_cbranch_execnz .LBB2_1639
.LBB2_1152:                             ;   in Loop: Header=BB2_1128 Depth=3
	s_delay_alu instid0(VALU_DEP_1) | instskip(SKIP_2) | instid1(VALU_DEP_2)
	v_lshlrev_b64 v[8:9], 3, v[8:9]
	v_and_b32_e32 v2, 0x2000, v30
	s_mov_b32 s11, exec_lo
	v_add_co_u32 v8, vcc_lo, v24, v8
	s_delay_alu instid0(VALU_DEP_3)
	v_add_co_ci_u32_e32 v9, vcc_lo, v25, v9, vcc_lo
	ds_store_b64 v0, v[8:9]
	v_cmpx_ne_u32_e32 0, v2
	s_cbranch_execz .LBB2_1154
; %bb.1153:                             ;   in Loop: Header=BB2_1128 Depth=3
	ds_load_b64 v[8:9], v0 offset:584
	s_waitcnt lgkmcnt(0)
	v_add_co_u32 v8, vcc_lo, v8, 1
	v_add_co_ci_u32_e32 v9, vcc_lo, 0, v9, vcc_lo
	ds_store_b64 v0, v[8:9] offset:584
.LBB2_1154:                             ;   in Loop: Header=BB2_1128 Depth=3
	s_or_b32 exec_lo, exec_lo, s11
	v_add_co_u32 v22, vcc_lo, v22, 2
	v_add_co_ci_u32_e32 v23, vcc_lo, 0, v23, vcc_lo
.LBB2_1155:                             ;   in Loop: Header=BB2_1128 Depth=3
	s_or_b32 exec_lo, exec_lo, s5
	s_and_saveexec_b32 s5, s3
	s_cbranch_execz .LBB2_1177
; %bb.1156:                             ;   in Loop: Header=BB2_1128 Depth=3
	s_and_saveexec_b32 s11, s4
	s_delay_alu instid0(SALU_CYCLE_1)
	s_xor_b32 s11, exec_lo, s11
	s_cbranch_execz .LBB2_1174
; %bb.1157:                             ;   in Loop: Header=BB2_1128 Depth=3
	s_and_saveexec_b32 s13, s1
	s_cbranch_execz .LBB2_1173
; %bb.1158:                             ;   in Loop: Header=BB2_1128 Depth=3
	s_mov_b32 s26, exec_lo
	s_mov_b32 s17, exec_lo
	v_mbcnt_lo_u32_b32 v2, s26, 0
	s_waitcnt lgkmcnt(0)
	s_waitcnt_vscnt null, 0x0
	buffer_gl1_inv
	buffer_gl0_inv
	v_cmpx_eq_u32_e32 0, v2
	s_cbranch_execz .LBB2_1160
; %bb.1159:                             ;   in Loop: Header=BB2_1128 Depth=3
	s_bcnt1_i32_b32 s26, s26
	s_delay_alu instid0(SALU_CYCLE_1)
	v_mov_b32_e32 v2, s26
	ds_add_u64 v0, v[2:3]
	s_cbranch_execnz .LBB2_1789
.LBB2_1160:                             ;   in Loop: Header=BB2_1128 Depth=3
	s_or_b32 exec_lo, exec_lo, s17
	s_cbranch_execnz .LBB2_1759
; %bb.1161:                             ;   in Loop: Header=BB2_1128 Depth=3
	ds_load_b64 v[8:9], v0
	v_add_co_u32 v12, vcc_lo, v12, v96
	v_add_co_ci_u32_e32 v13, vcc_lo, 0, v13, vcc_lo
	s_mov_b32 s17, exec_lo
	s_waitcnt lgkmcnt(0)
	s_delay_alu instid0(VALU_DEP_1)
	v_cmpx_lt_u64_e64 v[8:9], v[12:13]
	s_cbranch_execz .LBB2_1172
; %bb.1162:                             ;   in Loop: Header=BB2_1128 Depth=3
	s_mov_b32 s26, 0
	s_mov_b32 s31, 0
                                        ; implicit-def: $vcc_hi
                                        ; implicit-def: $sgpr30
	s_branch .LBB2_1164
.LBB2_1163:                             ;   in Loop: Header=BB2_1164 Depth=4
	s_or_b32 exec_lo, exec_lo, s35
	s_delay_alu instid0(SALU_CYCLE_1) | instskip(NEXT) | instid1(SALU_CYCLE_1)
	s_and_b32 vcc_lo, exec_lo, vcc_lo
	s_or_b32 s26, vcc_lo, s26
	s_and_not1_b32 vcc_lo, vcc_hi, exec_lo
	s_and_b32 vcc_hi, s30, exec_lo
	s_delay_alu instid0(SALU_CYCLE_1)
	s_or_b32 vcc_hi, vcc_lo, vcc_hi
	s_and_not1_b32 exec_lo, exec_lo, s26
	s_cbranch_execz .LBB2_1170
.LBB2_1164:                             ;   Parent Loop BB2_55 Depth=1
                                        ;     Parent Loop BB2_915 Depth=2
                                        ;       Parent Loop BB2_1128 Depth=3
                                        ; =>      This Inner Loop Header: Depth=4
	s_add_i32 s31, s31, 1
                                        ; implicit-def: $sgpr35
	s_delay_alu instid0(SALU_CYCLE_1) | instskip(SKIP_1) | instid1(SALU_CYCLE_1)
	s_cmpk_lg_i32 s31, 0x2710
	s_cselect_b32 s34, -1, 0
	s_and_b32 vcc_lo, exec_lo, s34
	s_cbranch_vccz .LBB2_1168
.LBB2_1165:                             ;   in Loop: Header=BB2_1164 Depth=4
	s_and_not1_b32 s30, s30, exec_lo
	s_and_b32 s35, s35, exec_lo
	s_mov_b32 vcc_lo, -1
	s_or_b32 s30, s30, s35
	s_and_saveexec_b32 s35, s34
	s_cbranch_execz .LBB2_1163
; %bb.1166:                             ;   in Loop: Header=BB2_1164 Depth=4
	s_sleep 1
	s_cbranch_execnz .LBB2_1841
; %bb.1167:                             ;   in Loop: Header=BB2_1164 Depth=4
	ds_load_b64 v[8:9], v0
	s_and_not1_b32 s30, s30, exec_lo
	s_waitcnt lgkmcnt(0)
	v_cmp_ge_u64_e32 vcc_lo, v[8:9], v[12:13]
	s_or_not1_b32 vcc_lo, vcc_lo, exec_lo
	s_branch .LBB2_1163
.LBB2_1168:                             ;   in Loop: Header=BB2_1164 Depth=4
	s_cbranch_execnz .LBB2_1857
; %bb.1169:                             ;   in Loop: Header=BB2_1164 Depth=4
	ds_load_b64 v[8:9], v0
	s_and_not1_b32 s34, s34, exec_lo
	s_mov_b32 s31, 0
	s_mov_b32 s35, -1
	s_waitcnt lgkmcnt(0)
	flat_load_b32 v2, v[8:9] glc
	s_waitcnt vmcnt(0) lgkmcnt(0)
	buffer_gl1_inv
	buffer_gl0_inv
	v_cmp_eq_u32_e32 vcc_lo, 0, v2
	s_and_b32 vcc_lo, vcc_lo, exec_lo
	s_delay_alu instid0(SALU_CYCLE_1)
	s_or_b32 s34, s34, vcc_lo
	s_branch .LBB2_1165
.LBB2_1170:                             ;   in Loop: Header=BB2_1128 Depth=3
	s_or_b32 exec_lo, exec_lo, s26
	s_and_saveexec_b32 s26, vcc_hi
	s_delay_alu instid0(SALU_CYCLE_1)
	s_xor_b32 s26, exec_lo, s26
	s_cbranch_execz .LBB2_1172
; %bb.1171:                             ;   in Loop: Header=BB2_1128 Depth=3
	ds_store_b32 v0, v129
	s_cbranch_execnz .LBB2_1971
.LBB2_1172:                             ;   in Loop: Header=BB2_1128 Depth=3
	s_or_b32 exec_lo, exec_lo, s17
	;;#ASMSTART
	s_wakeup
	;;#ASMEND
.LBB2_1173:                             ;   in Loop: Header=BB2_1128 Depth=3
	s_or_b32 exec_lo, exec_lo, s13
.LBB2_1174:                             ;   in Loop: Header=BB2_1128 Depth=3
	s_and_not1_saveexec_b32 s11, s11
	s_cbranch_execz .LBB2_1176
; %bb.1175:                             ;   in Loop: Header=BB2_1128 Depth=3
	s_waitcnt lgkmcnt(0)
	s_waitcnt_vscnt null, 0x0
	buffer_gl1_inv
	buffer_gl0_inv
	s_barrier
.LBB2_1176:                             ;   in Loop: Header=BB2_1128 Depth=3
	s_or_b32 exec_lo, exec_lo, s11
.LBB2_1177:                             ;   in Loop: Header=BB2_1128 Depth=3
	s_delay_alu instid0(SALU_CYCLE_1) | instskip(SKIP_1) | instid1(SALU_CYCLE_1)
	s_or_b32 exec_lo, exec_lo, s5
                                        ; implicit-def: $vgpr2
	s_and_saveexec_b32 s5, s7
	s_xor_b32 s5, exec_lo, s5
	s_cbranch_execz .LBB2_1182
; %bb.1178:                             ;   in Loop: Header=BB2_1128 Depth=3
	s_cbranch_execnz .LBB2_1671
; %bb.1179:                             ;   in Loop: Header=BB2_1128 Depth=3
	ds_load_b32 v2, v0
	v_cmp_lt_i32_e32 vcc_lo, 0, v52
	s_waitcnt lgkmcnt(0)
	v_readfirstlane_b32 s11, v2
	v_and_b32_e32 v2, 16, v30
	s_delay_alu instid0(VALU_DEP_2) | instskip(NEXT) | instid1(VALU_DEP_1)
	s_cmp_eq_u32 s11, 0
	v_cmp_ne_u32_e64 s13, 0, v2
	s_cselect_b32 s11, -1, 0
	v_and_b32_e32 v2, 16, v30
	s_and_b32 s11, vcc_lo, s11
	s_delay_alu instid0(VALU_DEP_2) | instid1(SALU_CYCLE_1)
	s_and_b32 s13, s13, s11
	s_delay_alu instid0(SALU_CYCLE_1)
	s_and_saveexec_b32 s11, s13
	s_cbranch_execz .LBB2_1181
; %bb.1180:                             ;   in Loop: Header=BB2_1128 Depth=3
	v_mov_b32_e32 v2, 1
	s_waitcnt_vscnt null, 0x0
	buffer_gl1_inv
	buffer_gl0_inv
.LBB2_1181:                             ;   in Loop: Header=BB2_1128 Depth=3
	s_or_b32 exec_lo, exec_lo, s11
.LBB2_1182:                             ;   in Loop: Header=BB2_1128 Depth=3
	s_and_not1_saveexec_b32 s5, s5
	s_cbranch_execz .LBB2_1204
; %bb.1183:                             ;   in Loop: Header=BB2_1128 Depth=3
	s_and_saveexec_b32 s11, s4
	s_delay_alu instid0(SALU_CYCLE_1)
	s_xor_b32 s11, exec_lo, s11
	s_cbranch_execz .LBB2_1201
; %bb.1184:                             ;   in Loop: Header=BB2_1128 Depth=3
	s_and_saveexec_b32 s13, s1
	s_cbranch_execz .LBB2_1200
; %bb.1185:                             ;   in Loop: Header=BB2_1128 Depth=3
	s_mov_b32 s26, exec_lo
	s_mov_b32 s17, exec_lo
	v_mbcnt_lo_u32_b32 v2, s26, 0
	;;#ASMSTART
	s_waitcnt lgkmcnt(0) vmcnt(0)
	;;#ASMEND
	s_delay_alu instid0(VALU_DEP_1)
	v_cmpx_eq_u32_e32 0, v2
	s_cbranch_execz .LBB2_1187
; %bb.1186:                             ;   in Loop: Header=BB2_1128 Depth=3
	s_bcnt1_i32_b32 s26, s26
	s_delay_alu instid0(SALU_CYCLE_1)
	v_mov_b32_e32 v2, s26
	ds_add_u64 v0, v[2:3]
	s_cbranch_execnz .LBB2_1811
.LBB2_1187:                             ;   in Loop: Header=BB2_1128 Depth=3
	s_or_b32 exec_lo, exec_lo, s17
	s_cbranch_execnz .LBB2_1787
; %bb.1188:                             ;   in Loop: Header=BB2_1128 Depth=3
	ds_load_b64 v[8:9], v0
	v_add_co_u32 v12, vcc_lo, v12, v96
	v_add_co_ci_u32_e32 v13, vcc_lo, 0, v13, vcc_lo
	s_mov_b32 s17, exec_lo
	s_waitcnt lgkmcnt(0)
	s_delay_alu instid0(VALU_DEP_1)
	v_cmpx_lt_u64_e64 v[8:9], v[12:13]
	s_cbranch_execz .LBB2_1199
; %bb.1189:                             ;   in Loop: Header=BB2_1128 Depth=3
	s_mov_b32 s26, 0
	s_mov_b32 s31, 0
                                        ; implicit-def: $vcc_hi
                                        ; implicit-def: $sgpr30
	s_branch .LBB2_1191
.LBB2_1190:                             ;   in Loop: Header=BB2_1191 Depth=4
	s_or_b32 exec_lo, exec_lo, s35
	s_delay_alu instid0(SALU_CYCLE_1) | instskip(NEXT) | instid1(SALU_CYCLE_1)
	s_and_b32 vcc_lo, exec_lo, vcc_lo
	s_or_b32 s26, vcc_lo, s26
	s_and_not1_b32 vcc_lo, vcc_hi, exec_lo
	s_and_b32 vcc_hi, s30, exec_lo
	s_delay_alu instid0(SALU_CYCLE_1)
	s_or_b32 vcc_hi, vcc_lo, vcc_hi
	s_and_not1_b32 exec_lo, exec_lo, s26
	s_cbranch_execz .LBB2_1197
.LBB2_1191:                             ;   Parent Loop BB2_55 Depth=1
                                        ;     Parent Loop BB2_915 Depth=2
                                        ;       Parent Loop BB2_1128 Depth=3
                                        ; =>      This Inner Loop Header: Depth=4
	s_add_i32 s31, s31, 1
                                        ; implicit-def: $sgpr35
	s_delay_alu instid0(SALU_CYCLE_1) | instskip(SKIP_1) | instid1(SALU_CYCLE_1)
	s_cmpk_lg_i32 s31, 0x2710
	s_cselect_b32 s34, -1, 0
	s_and_b32 vcc_lo, exec_lo, s34
	s_cbranch_vccz .LBB2_1195
.LBB2_1192:                             ;   in Loop: Header=BB2_1191 Depth=4
	s_and_not1_b32 s30, s30, exec_lo
	s_and_b32 s35, s35, exec_lo
	s_mov_b32 vcc_lo, -1
	s_or_b32 s30, s30, s35
	s_and_saveexec_b32 s35, s34
	s_cbranch_execz .LBB2_1190
; %bb.1193:                             ;   in Loop: Header=BB2_1191 Depth=4
	s_sleep 1
	s_cbranch_execnz .LBB2_1867
; %bb.1194:                             ;   in Loop: Header=BB2_1191 Depth=4
	ds_load_b64 v[8:9], v0
	s_and_not1_b32 s30, s30, exec_lo
	s_waitcnt lgkmcnt(0)
	v_cmp_ge_u64_e32 vcc_lo, v[8:9], v[12:13]
	s_or_not1_b32 vcc_lo, vcc_lo, exec_lo
	s_branch .LBB2_1190
.LBB2_1195:                             ;   in Loop: Header=BB2_1191 Depth=4
	s_cbranch_execnz .LBB2_1879
; %bb.1196:                             ;   in Loop: Header=BB2_1191 Depth=4
	ds_load_b64 v[8:9], v0
	s_and_not1_b32 s34, s34, exec_lo
	s_mov_b32 s31, 0
	s_mov_b32 s35, -1
	s_waitcnt lgkmcnt(0)
	s_waitcnt_vscnt null, 0x0
	flat_load_b32 v2, v[8:9] glc
	s_waitcnt vmcnt(0) lgkmcnt(0)
	buffer_gl1_inv
	buffer_gl0_inv
	v_cmp_eq_u32_e32 vcc_lo, 0, v2
	s_and_b32 vcc_lo, vcc_lo, exec_lo
	s_delay_alu instid0(SALU_CYCLE_1)
	s_or_b32 s34, s34, vcc_lo
	s_branch .LBB2_1192
.LBB2_1197:                             ;   in Loop: Header=BB2_1128 Depth=3
	s_or_b32 exec_lo, exec_lo, s26
	s_and_saveexec_b32 s26, vcc_hi
	s_delay_alu instid0(SALU_CYCLE_1)
	s_xor_b32 s26, exec_lo, s26
	s_cbranch_execz .LBB2_1199
; %bb.1198:                             ;   in Loop: Header=BB2_1128 Depth=3
	ds_store_b32 v0, v129
	s_cbranch_execnz .LBB2_1979
.LBB2_1199:                             ;   in Loop: Header=BB2_1128 Depth=3
	s_or_b32 exec_lo, exec_lo, s17
	;;#ASMSTART
	s_wakeup
	;;#ASMEND
.LBB2_1200:                             ;   in Loop: Header=BB2_1128 Depth=3
	s_or_b32 exec_lo, exec_lo, s13
.LBB2_1201:                             ;   in Loop: Header=BB2_1128 Depth=3
	s_and_not1_saveexec_b32 s11, s11
	s_cbranch_execz .LBB2_1203
; %bb.1202:                             ;   in Loop: Header=BB2_1128 Depth=3
	;;#ASMSTART
	s_waitcnt lgkmcnt(0) vmcnt(0)
	;;#ASMEND
	s_waitcnt lgkmcnt(0)
	s_waitcnt_vscnt null, 0x0
	s_barrier
.LBB2_1203:                             ;   in Loop: Header=BB2_1128 Depth=3
	s_or_b32 exec_lo, exec_lo, s11
	v_and_b32_e32 v2, 16, v30
.LBB2_1204:                             ;   in Loop: Header=BB2_1128 Depth=3
	s_or_b32 exec_lo, exec_lo, s5
	s_delay_alu instid0(VALU_DEP_1) | instskip(SKIP_1) | instid1(SALU_CYCLE_1)
	v_cmp_ne_u32_e32 vcc_lo, 0, v2
	s_xor_b32 s5, s6, -1
	s_and_b32 s11, vcc_lo, s5
	s_delay_alu instid0(SALU_CYCLE_1)
	s_and_saveexec_b32 s5, s11
	s_cbranch_execz .LBB2_1206
; %bb.1205:                             ;   in Loop: Header=BB2_1128 Depth=3
	s_waitcnt lgkmcnt(0)
	s_waitcnt_vscnt null, 0x0
	flat_store_b32 v[26:27], v129
.LBB2_1206:                             ;   in Loop: Header=BB2_1128 Depth=3
	s_or_b32 exec_lo, exec_lo, s5
	v_and_b32_e32 v2, 48, v30
	s_mov_b32 s5, exec_lo
	s_delay_alu instid0(VALU_DEP_1)
	v_cmpx_ne_u32_e32 0, v2
	s_cbranch_execz .LBB2_1208
; %bb.1207:                             ;   in Loop: Header=BB2_1128 Depth=3
	v_add_co_u32 v22, vcc_lo, v22, 2
	v_add_co_ci_u32_e32 v23, vcc_lo, 0, v23, vcc_lo
	s_waitcnt lgkmcnt(0)
	s_waitcnt_vscnt null, 0x0
	flat_store_b64 v[20:21], v[22:23]
.LBB2_1208:                             ;   in Loop: Header=BB2_1128 Depth=3
	s_or_b32 exec_lo, exec_lo, s5
	v_add_nc_u32_e32 v54, v52, v54
	s_mov_b32 s5, 0
	s_and_not1_b32 exec_lo, exec_lo, s15
	s_cbranch_execnz .LBB2_1128
; %bb.1209:                             ;   in Loop: Header=BB2_915 Depth=2
	s_or_b32 exec_lo, exec_lo, s15
.LBB2_1210:                             ;   in Loop: Header=BB2_915 Depth=2
	s_delay_alu instid0(SALU_CYCLE_1)
	s_or_b32 exec_lo, exec_lo, s14
	s_add_i32 s5, s21, 1
	s_cmp_eq_u32 s21, s18
	s_cbranch_scc0 .LBB2_915
.LBB2_1211:                             ;   in Loop: Header=BB2_55 Depth=1
	s_mov_b32 s5, s20
	v_mul_lo_u32 v8, v38, s23
	v_mul_lo_u32 v2, v39, s5
	v_mad_u64_u32 v[9:10], null, v38, s5, 0
	s_mov_b32 s21, 0
	s_delay_alu instid0(VALU_DEP_1) | instskip(NEXT) | instid1(VALU_DEP_2)
	v_add3_u32 v10, v10, v8, v2
	v_sub_co_u32 v48, vcc_lo, v48, v9
	s_delay_alu instid0(VALU_DEP_2) | instskip(NEXT) | instid1(VALU_DEP_1)
	v_sub_co_ci_u32_e32 v49, vcc_lo, v49, v10, vcc_lo
	v_cmp_lt_i64_e32 vcc_lo, v[38:39], v[48:49]
	v_cndmask_b32_e32 v8, v48, v38, vcc_lo
	s_delay_alu instid0(VALU_DEP_1) | instskip(SKIP_2) | instid1(VALU_DEP_3)
	v_max_i32_e32 v52, 0, v8
	v_cmp_lt_i32_e32 vcc_lo, 0, v8
	v_mov_b32_e32 v8, 0
	v_add_nc_u32_e32 v2, 31, v52
	s_and_b32 s5, s22, vcc_lo
	s_delay_alu instid0(VALU_DEP_1) | instskip(NEXT) | instid1(VALU_DEP_1)
	v_lshrrev_b32_e32 v2, 1, v2
	v_dual_mov_b32 v2, 0 :: v_dual_and_b32 v11, 0x3ffffff0, v2
	s_delay_alu instid0(VALU_DEP_1)
	v_max_i32_e32 v53, s16, v11
	s_and_saveexec_b32 s15, s5
	s_cbranch_execz .LBB2_1373
; %bb.1212:                             ;   in Loop: Header=BB2_55 Depth=1
	v_add_co_u32 v8, vcc_lo, v9, v50
	v_add_co_ci_u32_e32 v9, vcc_lo, v10, v51, vcc_lo
	s_mov_b32 s31, 1
	s_mov_b32 s30, -1
	s_delay_alu instid0(VALU_DEP_1)
	v_lshlrev_b64 v[10:11], 3, v[8:9]
	v_mov_b32_e32 v8, 0
.LBB2_1213:                             ;   Parent Loop BB2_55 Depth=1
                                        ; =>  This Loop Header: Depth=2
                                        ;       Child Loop BB2_1222 Depth 3
                                        ;       Child Loop BB2_1249 Depth 3
                                        ;       Child Loop BB2_1272 Depth 3
                                        ;       Child Loop BB2_1296 Depth 3
                                        ;       Child Loop BB2_1302 Depth 3
                                        ;       Child Loop BB2_1312 Depth 3
                                        ;       Child Loop BB2_1318 Depth 3
                                        ;       Child Loop BB2_1330 Depth 3
                                        ;       Child Loop BB2_1356 Depth 3
	s_and_saveexec_b32 s5, s0
	s_cbranch_execz .LBB2_1216
; %bb.1214:                             ;   in Loop: Header=BB2_1213 Depth=2
	s_cbranch_execnz .LBB2_1623
; %bb.1215:                             ;   in Loop: Header=BB2_1213 Depth=2
	ds_load_b128 v[48:51], v0
	v_ashrrev_i32_e32 v9, 31, v8
	s_delay_alu instid0(VALU_DEP_1)
	v_lshlrev_b64 v[54:55], 3, v[8:9]
	s_waitcnt lgkmcnt(0)
	v_add_co_u32 v2, vcc_lo, v50, v10
	v_add_co_ci_u32_e32 v9, vcc_lo, v51, v11, vcc_lo
	v_add_co_u32 v48, vcc_lo, v48, v10
	v_add_co_ci_u32_e32 v49, vcc_lo, v49, v11, vcc_lo
	s_delay_alu instid0(VALU_DEP_4) | instskip(NEXT) | instid1(VALU_DEP_4)
	v_add_co_u32 v2, vcc_lo, v2, v54
	v_add_co_ci_u32_e32 v9, vcc_lo, v9, v55, vcc_lo
	v_cmp_ne_u64_e32 vcc_lo, 0, v[50:51]
	v_add_co_u32 v48, s13, v48, v54
	s_delay_alu instid0(VALU_DEP_1) | instskip(NEXT) | instid1(VALU_DEP_4)
	v_add_co_ci_u32_e64 v49, s13, v49, v55, s13
	v_dual_cndmask_b32 v51, 0, v9 :: v_dual_cndmask_b32 v50, 0, v2
	ds_store_b64 v0, v[48:49]
	ds_store_b64 v0, v[50:51]
.LBB2_1216:                             ;   in Loop: Header=BB2_1213 Depth=2
	s_or_b32 exec_lo, exec_lo, s5
	v_and_b32_e32 v2, 4, v30
	s_mov_b32 s11, -1
	s_mov_b32 s5, exec_lo
	s_delay_alu instid0(VALU_DEP_1)
	v_cmpx_ne_u32_e32 0, v2
	s_cbranch_execz .LBB2_1230
; %bb.1217:                             ;   in Loop: Header=BB2_1213 Depth=2
	v_add_co_u32 v48, vcc_lo, v22, 2
	v_add_co_ci_u32_e32 v49, vcc_lo, 0, v23, vcc_lo
	v_mov_b32_e32 v2, 1
	s_mov_b32 s11, exec_lo
	s_delay_alu instid0(VALU_DEP_2)
	v_cmpx_lt_u64_e64 v[28:29], v[48:49]
	s_cbranch_execz .LBB2_1229
; %bb.1218:                             ;   in Loop: Header=BB2_1213 Depth=2
	v_mov_b32_e32 v2, 0
	s_mov_b32 s13, 0
                                        ; implicit-def: $sgpr14
	s_branch .LBB2_1222
.LBB2_1219:                             ;   in Loop: Header=BB2_1222 Depth=3
	s_or_b32 exec_lo, exec_lo, s34
	v_mov_b32_e32 v9, 0
	s_or_not1_b32 vcc_hi, vcc_hi, exec_lo
.LBB2_1220:                             ;   in Loop: Header=BB2_1222 Depth=3
	s_or_b32 exec_lo, exec_lo, s26
	s_delay_alu instid0(VALU_DEP_1) | instskip(SKIP_2) | instid1(SALU_CYCLE_1)
	v_mov_b32_e32 v2, v9
	s_and_not1_b32 s14, s14, exec_lo
	s_and_b32 s26, vcc_hi, exec_lo
	s_or_b32 s14, s14, s26
.LBB2_1221:                             ;   in Loop: Header=BB2_1222 Depth=3
	s_or_b32 exec_lo, exec_lo, s17
	s_waitcnt vmcnt(0) lgkmcnt(0)
	v_cmp_ge_u64_e32 vcc_lo, v[28:29], v[48:49]
	s_xor_b32 s17, s14, -1
	s_delay_alu instid0(SALU_CYCLE_1) | instskip(NEXT) | instid1(SALU_CYCLE_1)
	s_or_b32 s17, s17, vcc_lo
	s_and_b32 s17, exec_lo, s17
	s_delay_alu instid0(SALU_CYCLE_1) | instskip(NEXT) | instid1(SALU_CYCLE_1)
	s_or_b32 s13, s17, s13
	s_and_not1_b32 exec_lo, exec_lo, s13
	s_cbranch_execz .LBB2_1228
.LBB2_1222:                             ;   Parent Loop BB2_55 Depth=1
                                        ;     Parent Loop BB2_1213 Depth=2
                                        ; =>    This Inner Loop Header: Depth=3
	s_sleep 1
	flat_load_b64 v[28:29], v[20:21] glc
	v_and_b32_e32 v9, 64, v30
	s_and_not1_b32 s14, s14, exec_lo
	s_mov_b32 s17, exec_lo
	s_delay_alu instid0(VALU_DEP_1)
	v_cmpx_eq_u32_e32 0, v9
	s_cbranch_execz .LBB2_1221
; %bb.1223:                             ;   in Loop: Header=BB2_1222 Depth=3
	v_add_nc_u32_e32 v9, 1, v2
	s_mov_b32 vcc_hi, -1
	s_mov_b32 s26, exec_lo
	v_cmpx_lt_i32_e32 0x270e, v2
	s_cbranch_execz .LBB2_1220
; %bb.1224:                             ;   in Loop: Header=BB2_1222 Depth=3
	s_cbranch_execnz .LBB2_1667
; %bb.1225:                             ;   in Loop: Header=BB2_1222 Depth=3
	ds_load_b64 v[50:51], v0
	s_mov_b32 s34, exec_lo
	s_waitcnt vmcnt(0) lgkmcnt(0)
	s_waitcnt_vscnt null, 0x0
	flat_load_b32 v2, v[50:51] glc
	s_waitcnt vmcnt(0) lgkmcnt(0)
	buffer_gl1_inv
	buffer_gl0_inv
	v_cmpx_ne_u32_e32 0, v2
	s_cbranch_execz .LBB2_1219
; %bb.1226:                             ;   in Loop: Header=BB2_1222 Depth=3
	ds_store_b32 v0, v2
	s_cbranch_execnz .LBB2_1745
; %bb.1227:                             ;   in Loop: Header=BB2_1222 Depth=3
	v_or_b32_e32 v30, 64, v30
	s_xor_b32 vcc_hi, exec_lo, -1
	s_branch .LBB2_1219
.LBB2_1228:                             ;   in Loop: Header=BB2_1213 Depth=2
	s_or_b32 exec_lo, exec_lo, s13
	v_and_b32_e32 v2, 4, v30
.LBB2_1229:                             ;   in Loop: Header=BB2_1213 Depth=2
	s_or_b32 exec_lo, exec_lo, s11
	s_delay_alu instid0(VALU_DEP_1)
	v_cmp_eq_u32_e32 vcc_lo, 0, v2
	;;#ASMSTART
	s_wakeup
	;;#ASMEND
	s_or_not1_b32 s11, vcc_lo, exec_lo
.LBB2_1230:                             ;   in Loop: Header=BB2_1213 Depth=2
	s_or_b32 exec_lo, exec_lo, s5
	s_xor_b32 s11, s11, -1
	s_delay_alu instid0(SALU_CYCLE_1)
	s_and_saveexec_b32 s5, s11
	s_cbranch_execz .LBB2_1240
; %bb.1231:                             ;   in Loop: Header=BB2_1213 Depth=2
	v_and_b32_e32 v2, 0x100, v30
	s_mov_b32 s13, -1
                                        ; implicit-def: $vgpr48_vgpr49
	s_delay_alu instid0(VALU_DEP_1)
	v_cmp_ne_u32_e32 vcc_lo, 0, v2
	v_and_b32_e32 v2, 7, v22
	s_and_saveexec_b32 s11, vcc_lo
	s_cbranch_execz .LBB2_1235
; %bb.1232:                             ;   in Loop: Header=BB2_1213 Depth=2
	s_delay_alu instid0(VALU_DEP_1)
	v_mad_u64_u32 v[50:51], null, v2, 24, v[6:7]
	s_mov_b32 s14, exec_lo
                                        ; implicit-def: $vgpr48_vgpr49
	flat_load_b32 v9, v[50:51]
	s_waitcnt vmcnt(0) lgkmcnt(0)
	v_cmp_ne_u32_e32 vcc_lo, 1, v9
	v_cmpx_eq_u32_e32 1, v9
	s_cbranch_execz .LBB2_1234
; %bb.1233:                             ;   in Loop: Header=BB2_1213 Depth=2
	flat_load_b32 v48, v[50:51] offset:4 glc
	s_waitcnt vmcnt(0) lgkmcnt(0)
	v_ashrrev_i32_e32 v49, 31, v48
	s_delay_alu instid0(VALU_DEP_1)
	v_lshrrev_b64 v[48:49], 3, v[48:49]
.LBB2_1234:                             ;   in Loop: Header=BB2_1213 Depth=2
	s_or_b32 exec_lo, exec_lo, s14
	s_delay_alu instid0(SALU_CYCLE_1)
	s_or_not1_b32 s13, vcc_lo, exec_lo
.LBB2_1235:                             ;   in Loop: Header=BB2_1213 Depth=2
	s_or_b32 exec_lo, exec_lo, s11
	s_and_saveexec_b32 s11, s13
; %bb.1236:                             ;   in Loop: Header=BB2_1213 Depth=2
	v_mad_i64_i32 v[48:49], null, v2, v86, 0
; %bb.1237:                             ;   in Loop: Header=BB2_1213 Depth=2
	s_or_b32 exec_lo, exec_lo, s11
	s_delay_alu instid0(VALU_DEP_1) | instskip(SKIP_2) | instid1(VALU_DEP_2)
	v_lshlrev_b64 v[48:49], 3, v[48:49]
	v_and_b32_e32 v2, 0x2000, v30
	s_mov_b32 s11, exec_lo
	v_add_co_u32 v48, vcc_lo, v24, v48
	s_delay_alu instid0(VALU_DEP_3)
	v_add_co_ci_u32_e32 v49, vcc_lo, v25, v49, vcc_lo
	ds_store_b64 v0, v[48:49] offset:720
	v_cmpx_ne_u32_e32 0, v2
	s_cbranch_execz .LBB2_1239
; %bb.1238:                             ;   in Loop: Header=BB2_1213 Depth=2
	ds_load_b64 v[48:49], v0 offset:584
	s_waitcnt lgkmcnt(0)
	v_add_co_u32 v48, vcc_lo, v48, 1
	v_add_co_ci_u32_e32 v49, vcc_lo, 0, v49, vcc_lo
	ds_store_b64 v0, v[48:49] offset:584
.LBB2_1239:                             ;   in Loop: Header=BB2_1213 Depth=2
	s_or_b32 exec_lo, exec_lo, s11
	v_add_co_u32 v22, vcc_lo, v22, 2
	v_add_co_ci_u32_e32 v23, vcc_lo, 0, v23, vcc_lo
.LBB2_1240:                             ;   in Loop: Header=BB2_1213 Depth=2
	s_or_b32 exec_lo, exec_lo, s5
	s_and_saveexec_b32 s5, s3
	s_cbranch_execz .LBB2_1262
; %bb.1241:                             ;   in Loop: Header=BB2_1213 Depth=2
	s_and_saveexec_b32 s11, s4
	s_delay_alu instid0(SALU_CYCLE_1)
	s_xor_b32 s11, exec_lo, s11
	s_cbranch_execz .LBB2_1259
; %bb.1242:                             ;   in Loop: Header=BB2_1213 Depth=2
	s_and_saveexec_b32 s13, s1
	s_cbranch_execz .LBB2_1258
; %bb.1243:                             ;   in Loop: Header=BB2_1213 Depth=2
	s_mov_b32 s17, exec_lo
	s_mov_b32 s14, exec_lo
	v_mbcnt_lo_u32_b32 v2, s17, 0
	s_waitcnt lgkmcnt(0)
	s_waitcnt_vscnt null, 0x0
	buffer_gl1_inv
	buffer_gl0_inv
	v_cmpx_eq_u32_e32 0, v2
	s_cbranch_execz .LBB2_1245
; %bb.1244:                             ;   in Loop: Header=BB2_1213 Depth=2
	s_bcnt1_i32_b32 s17, s17
	s_delay_alu instid0(SALU_CYCLE_1)
	v_mov_b32_e32 v2, s17
	ds_add_u64 v0, v[2:3]
	s_cbranch_execnz .LBB2_1781
.LBB2_1245:                             ;   in Loop: Header=BB2_1213 Depth=2
	s_or_b32 exec_lo, exec_lo, s14
	s_cbranch_execnz .LBB2_1753
; %bb.1246:                             ;   in Loop: Header=BB2_1213 Depth=2
	ds_load_b64 v[48:49], v0
	v_add_co_u32 v12, vcc_lo, v12, v96
	v_add_co_ci_u32_e32 v13, vcc_lo, 0, v13, vcc_lo
	s_mov_b32 s14, exec_lo
	s_waitcnt lgkmcnt(0)
	s_delay_alu instid0(VALU_DEP_1)
	v_cmpx_lt_u64_e64 v[48:49], v[12:13]
	s_cbranch_execz .LBB2_1257
; %bb.1247:                             ;   in Loop: Header=BB2_1213 Depth=2
	s_mov_b32 s17, 0
	s_mov_b32 s34, 0
                                        ; implicit-def: $sgpr26
                                        ; implicit-def: $vcc_hi
	s_branch .LBB2_1249
.LBB2_1248:                             ;   in Loop: Header=BB2_1249 Depth=3
	s_or_b32 exec_lo, exec_lo, s36
	s_delay_alu instid0(SALU_CYCLE_1) | instskip(NEXT) | instid1(SALU_CYCLE_1)
	s_and_b32 vcc_lo, exec_lo, vcc_lo
	s_or_b32 s17, vcc_lo, s17
	s_and_not1_b32 s26, s26, exec_lo
	s_and_b32 vcc_lo, vcc_hi, exec_lo
	s_delay_alu instid0(SALU_CYCLE_1)
	s_or_b32 s26, s26, vcc_lo
	s_and_not1_b32 exec_lo, exec_lo, s17
	s_cbranch_execz .LBB2_1255
.LBB2_1249:                             ;   Parent Loop BB2_55 Depth=1
                                        ;     Parent Loop BB2_1213 Depth=2
                                        ; =>    This Inner Loop Header: Depth=3
	s_add_i32 s34, s34, 1
                                        ; implicit-def: $sgpr36
	s_delay_alu instid0(SALU_CYCLE_1) | instskip(SKIP_1) | instid1(SALU_CYCLE_1)
	s_cmpk_lg_i32 s34, 0x2710
	s_cselect_b32 s35, -1, 0
	s_and_b32 vcc_lo, exec_lo, s35
	s_cbranch_vccz .LBB2_1253
.LBB2_1250:                             ;   in Loop: Header=BB2_1249 Depth=3
	s_and_not1_b32 vcc_hi, vcc_hi, exec_lo
	s_and_b32 s36, s36, exec_lo
	s_mov_b32 vcc_lo, -1
	s_or_b32 vcc_hi, vcc_hi, s36
	s_and_saveexec_b32 s36, s35
	s_cbranch_execz .LBB2_1248
; %bb.1251:                             ;   in Loop: Header=BB2_1249 Depth=3
	s_sleep 1
	s_cbranch_execnz .LBB2_1833
; %bb.1252:                             ;   in Loop: Header=BB2_1249 Depth=3
	ds_load_b64 v[48:49], v0
	s_waitcnt lgkmcnt(0)
	v_cmp_ge_u64_e32 vcc_lo, v[48:49], v[12:13]
	s_and_not1_b32 vcc_hi, vcc_hi, exec_lo
	s_or_not1_b32 vcc_lo, vcc_lo, exec_lo
	s_branch .LBB2_1248
.LBB2_1253:                             ;   in Loop: Header=BB2_1249 Depth=3
	s_cbranch_execnz .LBB2_1847
; %bb.1254:                             ;   in Loop: Header=BB2_1249 Depth=3
	ds_load_b64 v[48:49], v0
	s_and_not1_b32 s35, s35, exec_lo
	s_mov_b32 s34, 0
	s_mov_b32 s36, -1
	s_waitcnt lgkmcnt(0)
	flat_load_b32 v2, v[48:49] glc
	s_waitcnt vmcnt(0) lgkmcnt(0)
	buffer_gl1_inv
	buffer_gl0_inv
	v_cmp_eq_u32_e32 vcc_lo, 0, v2
	s_and_b32 vcc_lo, vcc_lo, exec_lo
	s_delay_alu instid0(SALU_CYCLE_1)
	s_or_b32 s35, s35, vcc_lo
	s_branch .LBB2_1250
.LBB2_1255:                             ;   in Loop: Header=BB2_1213 Depth=2
	s_or_b32 exec_lo, exec_lo, s17
	s_and_saveexec_b32 s17, s26
	s_delay_alu instid0(SALU_CYCLE_1)
	s_xor_b32 s17, exec_lo, s17
	s_cbranch_execz .LBB2_1257
; %bb.1256:                             ;   in Loop: Header=BB2_1213 Depth=2
	ds_store_b32 v0, v129
	s_cbranch_execnz .LBB2_1967
.LBB2_1257:                             ;   in Loop: Header=BB2_1213 Depth=2
	s_or_b32 exec_lo, exec_lo, s14
	;;#ASMSTART
	s_wakeup
	;;#ASMEND
.LBB2_1258:                             ;   in Loop: Header=BB2_1213 Depth=2
	s_or_b32 exec_lo, exec_lo, s13
.LBB2_1259:                             ;   in Loop: Header=BB2_1213 Depth=2
	s_and_not1_saveexec_b32 s11, s11
	s_cbranch_execz .LBB2_1261
; %bb.1260:                             ;   in Loop: Header=BB2_1213 Depth=2
	s_waitcnt lgkmcnt(0)
	s_waitcnt_vscnt null, 0x0
	buffer_gl1_inv
	buffer_gl0_inv
	s_barrier
.LBB2_1261:                             ;   in Loop: Header=BB2_1213 Depth=2
	s_or_b32 exec_lo, exec_lo, s11
.LBB2_1262:                             ;   in Loop: Header=BB2_1213 Depth=2
	s_delay_alu instid0(SALU_CYCLE_1)
	s_or_b32 exec_lo, exec_lo, s5
	s_cbranch_execnz .LBB2_1617
; %bb.1263:                             ;   in Loop: Header=BB2_1213 Depth=2
	ds_load_b32 v48, v0
	v_and_b32_e32 v2, 0x4000, v30
	s_xor_b32 s5, s2, -1
	s_delay_alu instid0(VALU_DEP_1) | instskip(SKIP_1) | instid1(SALU_CYCLE_1)
	v_cmp_ne_u32_e32 vcc_lo, 0, v2
	s_and_b32 s11, s5, vcc_lo
	s_and_saveexec_b32 s5, s11
	s_cbranch_execz .LBB2_1285
; %bb.1264:                             ;   in Loop: Header=BB2_1213 Depth=2
	s_and_saveexec_b32 s11, s4
	s_delay_alu instid0(SALU_CYCLE_1)
	s_xor_b32 s11, exec_lo, s11
	s_cbranch_execz .LBB2_1282
; %bb.1265:                             ;   in Loop: Header=BB2_1213 Depth=2
	s_and_saveexec_b32 s13, s1
	s_cbranch_execz .LBB2_1281
; %bb.1266:                             ;   in Loop: Header=BB2_1213 Depth=2
	s_mov_b32 s17, exec_lo
	s_mov_b32 s14, exec_lo
	v_mbcnt_lo_u32_b32 v2, s17, 0
	s_waitcnt lgkmcnt(0)
	s_waitcnt_vscnt null, 0x0
	buffer_gl1_inv
	buffer_gl0_inv
	v_cmpx_eq_u32_e32 0, v2
	s_cbranch_execz .LBB2_1268
; %bb.1267:                             ;   in Loop: Header=BB2_1213 Depth=2
	s_bcnt1_i32_b32 s17, s17
	s_delay_alu instid0(SALU_CYCLE_1)
	v_mov_b32_e32 v2, s17
	ds_add_u64 v0, v[2:3]
	s_cbranch_execnz .LBB2_1825
.LBB2_1268:                             ;   in Loop: Header=BB2_1213 Depth=2
	s_or_b32 exec_lo, exec_lo, s14
	s_cbranch_execnz .LBB2_1805
; %bb.1269:                             ;   in Loop: Header=BB2_1213 Depth=2
	ds_load_b64 v[49:50], v0
	v_add_co_u32 v12, vcc_lo, v12, v96
	v_add_co_ci_u32_e32 v13, vcc_lo, 0, v13, vcc_lo
	s_mov_b32 s14, exec_lo
	s_waitcnt lgkmcnt(0)
	s_delay_alu instid0(VALU_DEP_1)
	v_cmpx_lt_u64_e64 v[49:50], v[12:13]
	s_cbranch_execz .LBB2_1280
; %bb.1270:                             ;   in Loop: Header=BB2_1213 Depth=2
	s_mov_b32 s17, 0
	s_mov_b32 s34, 0
                                        ; implicit-def: $sgpr26
                                        ; implicit-def: $vcc_hi
	s_branch .LBB2_1272
.LBB2_1271:                             ;   in Loop: Header=BB2_1272 Depth=3
	s_or_b32 exec_lo, exec_lo, s36
	s_delay_alu instid0(SALU_CYCLE_1) | instskip(NEXT) | instid1(SALU_CYCLE_1)
	s_and_b32 vcc_lo, exec_lo, vcc_lo
	s_or_b32 s17, vcc_lo, s17
	s_and_not1_b32 s26, s26, exec_lo
	s_and_b32 vcc_lo, vcc_hi, exec_lo
	s_delay_alu instid0(SALU_CYCLE_1)
	s_or_b32 s26, s26, vcc_lo
	s_and_not1_b32 exec_lo, exec_lo, s17
	s_cbranch_execz .LBB2_1278
.LBB2_1272:                             ;   Parent Loop BB2_55 Depth=1
                                        ;     Parent Loop BB2_1213 Depth=2
                                        ; =>    This Inner Loop Header: Depth=3
	s_add_i32 s34, s34, 1
                                        ; implicit-def: $sgpr36
	s_delay_alu instid0(SALU_CYCLE_1) | instskip(SKIP_1) | instid1(SALU_CYCLE_1)
	s_cmpk_lg_i32 s34, 0x2710
	s_cselect_b32 s35, -1, 0
	s_and_b32 vcc_lo, exec_lo, s35
	s_cbranch_vccz .LBB2_1276
.LBB2_1273:                             ;   in Loop: Header=BB2_1272 Depth=3
	s_and_not1_b32 vcc_hi, vcc_hi, exec_lo
	s_and_b32 s36, s36, exec_lo
	s_mov_b32 vcc_lo, -1
	s_or_b32 vcc_hi, vcc_hi, s36
	s_and_saveexec_b32 s36, s35
	s_cbranch_execz .LBB2_1271
; %bb.1274:                             ;   in Loop: Header=BB2_1272 Depth=3
	s_sleep 1
	s_cbranch_execnz .LBB2_1883
; %bb.1275:                             ;   in Loop: Header=BB2_1272 Depth=3
	ds_load_b64 v[49:50], v0
	s_waitcnt lgkmcnt(0)
	v_cmp_ge_u64_e32 vcc_lo, v[49:50], v[12:13]
	s_and_not1_b32 vcc_hi, vcc_hi, exec_lo
	s_or_not1_b32 vcc_lo, vcc_lo, exec_lo
	s_branch .LBB2_1271
.LBB2_1276:                             ;   in Loop: Header=BB2_1272 Depth=3
	s_cbranch_execnz .LBB2_1895
; %bb.1277:                             ;   in Loop: Header=BB2_1272 Depth=3
	ds_load_b64 v[49:50], v0
	s_and_not1_b32 s35, s35, exec_lo
	s_mov_b32 s34, 0
	s_mov_b32 s36, -1
	s_waitcnt lgkmcnt(0)
	flat_load_b32 v2, v[49:50] glc
	s_waitcnt vmcnt(0) lgkmcnt(0)
	buffer_gl1_inv
	buffer_gl0_inv
	v_cmp_eq_u32_e32 vcc_lo, 0, v2
	s_and_b32 vcc_lo, vcc_lo, exec_lo
	s_delay_alu instid0(SALU_CYCLE_1)
	s_or_b32 s35, s35, vcc_lo
	s_branch .LBB2_1273
.LBB2_1278:                             ;   in Loop: Header=BB2_1213 Depth=2
	s_or_b32 exec_lo, exec_lo, s17
	s_and_saveexec_b32 s17, s26
	s_delay_alu instid0(SALU_CYCLE_1)
	s_xor_b32 s17, exec_lo, s17
	s_cbranch_execz .LBB2_1280
; %bb.1279:                             ;   in Loop: Header=BB2_1213 Depth=2
	ds_store_b32 v0, v129
	s_cbranch_execnz .LBB2_1981
.LBB2_1280:                             ;   in Loop: Header=BB2_1213 Depth=2
	s_or_b32 exec_lo, exec_lo, s14
	;;#ASMSTART
	s_wakeup
	;;#ASMEND
.LBB2_1281:                             ;   in Loop: Header=BB2_1213 Depth=2
	s_or_b32 exec_lo, exec_lo, s13
.LBB2_1282:                             ;   in Loop: Header=BB2_1213 Depth=2
	s_and_not1_saveexec_b32 s11, s11
	s_cbranch_execz .LBB2_1284
; %bb.1283:                             ;   in Loop: Header=BB2_1213 Depth=2
	s_waitcnt lgkmcnt(0)
	s_waitcnt_vscnt null, 0x0
	buffer_gl1_inv
	buffer_gl0_inv
	s_barrier
.LBB2_1284:                             ;   in Loop: Header=BB2_1213 Depth=2
	s_or_b32 exec_lo, exec_lo, s11
.LBB2_1285:                             ;   in Loop: Header=BB2_1213 Depth=2
	s_delay_alu instid0(SALU_CYCLE_1)
	s_or_b32 exec_lo, exec_lo, s5
	s_cbranch_execnz .LBB2_1675
; %bb.1286:                             ;   in Loop: Header=BB2_1213 Depth=2
	ds_load_b64 v[49:50], v0
	v_sub_nc_u32_e32 v2, v52, v8
	v_mov_b32_e32 v9, 0
	s_delay_alu instid0(VALU_DEP_2) | instskip(SKIP_3) | instid1(SALU_CYCLE_1)
	v_min_i32_e32 v53, v53, v2
	s_waitcnt lgkmcnt(0)
	v_cmp_eq_u64_e32 vcc_lo, 0, v[49:50]
	s_or_b32 s5, vcc_lo, vcc_lo
	s_and_b32 vcc_lo, exec_lo, s5
	s_cbranch_vccnz .LBB2_1321
; %bb.1287:                             ;   in Loop: Header=BB2_1213 Depth=2
	s_mov_b32 s5, -1
	s_mov_b32 s11, exec_lo
	v_readlane_b32 s13, v42, 4
	s_delay_alu instid0(VALU_DEP_1) | instskip(NEXT) | instid1(SALU_CYCLE_1)
	s_and_b32 s13, s11, s13
	s_mov_b32 exec_lo, s13
	s_cbranch_execz .LBB2_1289
; %bb.1288:                             ;   in Loop: Header=BB2_1213 Depth=2
	ds_load_b32 v2, v0 offset:720
	s_waitcnt lgkmcnt(0)
	v_and_b32_e32 v2, 15, v2
	s_delay_alu instid0(VALU_DEP_1)
	v_cmp_eq_u32_e32 vcc_lo, 0, v2
	s_or_not1_b32 s5, vcc_lo, exec_lo
.LBB2_1289:                             ;   in Loop: Header=BB2_1213 Depth=2
	s_or_b32 exec_lo, exec_lo, s11
	s_delay_alu instid0(SALU_CYCLE_1) | instskip(SKIP_1) | instid1(VALU_DEP_1)
	s_mov_b32 s11, exec_lo
	v_readlane_b32 s13, v42, 3
	s_and_b32 s13, s11, s13
	s_delay_alu instid0(SALU_CYCLE_1)
	s_mov_b32 exec_lo, s13
	s_cbranch_execz .LBB2_1291
; %bb.1290:                             ;   in Loop: Header=BB2_1213 Depth=2
	ds_load_b32 v2, v0 offset:784
	s_waitcnt lgkmcnt(0)
	v_and_b32_e32 v2, 15, v2
	s_delay_alu instid0(VALU_DEP_1) | instskip(SKIP_3) | instid1(SALU_CYCLE_1)
	v_cmp_eq_u32_e32 vcc_lo, 0, v2
	s_and_b32 s13, s5, vcc_lo
	s_and_not1_b32 s5, s5, exec_lo
	s_and_b32 s13, s13, exec_lo
	s_or_b32 s5, s5, s13
.LBB2_1291:                             ;   in Loop: Header=BB2_1213 Depth=2
	s_or_b32 exec_lo, exec_lo, s11
	v_cmp_eq_u32_e32 vcc_lo, 0, v48
	s_xor_b32 s5, s5, -1
	s_mov_b32 s11, -1
	v_cndmask_b32_e64 v2, 0, 1, s5
	;;#ASMSTART
	;;#ASMEND
	v_dual_cndmask_b32 v9, 0, v53 :: v_dual_mov_b32 v50, 0
	s_delay_alu instid0(VALU_DEP_2) | instskip(NEXT) | instid1(VALU_DEP_2)
	v_cmp_ne_u32_e32 vcc_lo, 0, v2
	v_lshlrev_b32_e32 v2, 3, v9
	s_cbranch_vccz .LBB2_1293
; %bb.1292:                             ;   in Loop: Header=BB2_1213 Depth=2
	v_dual_mov_b32 v51, v98 :: v_dual_mov_b32 v48, v97
	s_branch .LBB2_1308
.LBB2_1293:                             ;   in Loop: Header=BB2_1213 Depth=2
	s_delay_alu instid0(VALU_DEP_1) | instskip(SKIP_1) | instid1(VALU_DEP_1)
	v_ashrrev_i32_e32 v48, 31, v2
	s_mov_b32 s5, exec_lo
	v_lshrrev_b32_e32 v48, 22, v48
	s_delay_alu instid0(VALU_DEP_1) | instskip(NEXT) | instid1(VALU_DEP_1)
	v_add_nc_u32_e32 v48, v2, v48
	v_ashrrev_i32_e32 v54, 10, v48
	s_delay_alu instid0(VALU_DEP_1) | instskip(NEXT) | instid1(VALU_DEP_1)
	v_sub_nc_u32_e32 v55, v54, v97
	v_cmpx_lt_i32_e32 0, v55
	s_cbranch_execz .LBB2_1298
; %bb.1294:                             ;   in Loop: Header=BB2_1213 Depth=2
	s_cbranch_execnz .LBB2_1851
; %bb.1295:                             ;   in Loop: Header=BB2_1213 Depth=2
	ds_load_b64 v[48:49], v0
	v_dual_mov_b32 v51, v35 :: v_dual_mov_b32 v50, v34
	s_mov_b32 s11, 0
.LBB2_1296:                             ;   Parent Loop BB2_55 Depth=1
                                        ;     Parent Loop BB2_1213 Depth=2
                                        ; =>    This Inner Loop Header: Depth=3
	s_waitcnt lgkmcnt(0)
	s_delay_alu instid0(VALU_DEP_1) | instskip(NEXT) | instid1(VALU_DEP_2)
	v_add_co_u32 v68, vcc_lo, v48, v50
	v_add_co_ci_u32_e32 v69, vcc_lo, v49, v51, vcc_lo
	v_sub_nc_u32_e32 v55, v55, v96
	v_add_co_u32 v50, s13, v50, v102
	s_clause 0x1
	global_load_b128 v[64:67], v[68:69], off slc dlc
	global_load_b128 v[80:83], v[68:69], off offset:512 slc dlc
	v_add_co_ci_u32_e64 v51, s13, v51, v103, s13
	v_cmp_gt_i32_e32 vcc_lo, 1, v55
	s_waitcnt vmcnt(1)
	global_store_b128 v[68:69], v[64:67], off glc slc dlc
	s_waitcnt vmcnt(0)
	global_store_b128 v[68:69], v[80:83], off offset:512 glc slc dlc
	s_or_b32 s11, vcc_lo, s11
	s_delay_alu instid0(SALU_CYCLE_1)
	s_and_not1_b32 exec_lo, exec_lo, s11
	s_cbranch_execnz .LBB2_1296
; %bb.1297:                             ;   in Loop: Header=BB2_1213 Depth=2
	s_or_b32 exec_lo, exec_lo, s11
.LBB2_1298:                             ;   in Loop: Header=BB2_1213 Depth=2
	s_delay_alu instid0(SALU_CYCLE_1) | instskip(SKIP_4) | instid1(VALU_DEP_2)
	s_or_b32 exec_lo, exec_lo, s5
	v_lshlrev_b32_e32 v54, 10, v54
	v_mov_b32_e32 v50, 0
	s_mov_b32 s11, 0
	s_mov_b32 s5, exec_lo
                                        ; implicit-def: $vgpr51
                                        ; implicit-def: $vgpr48
	v_cmpx_ne_u32_e64 v2, v54
	s_cbranch_execz .LBB2_1307
; %bb.1299:                             ;   in Loop: Header=BB2_1213 Depth=2
	v_lshlrev_b32_e32 v48, 5, v55
	v_sub_nc_u32_e32 v50, v2, v54
	s_mov_b32 s11, exec_lo
	s_delay_alu instid0(VALU_DEP_2) | instskip(NEXT) | instid1(VALU_DEP_2)
	v_sub_nc_u32_e32 v48, v98, v48
	v_ashrrev_i32_e32 v51, 31, v50
	s_delay_alu instid0(VALU_DEP_2) | instskip(NEXT) | instid1(VALU_DEP_2)
	v_ashrrev_i32_e32 v49, 31, v48
	v_lshrrev_b32_e32 v51, 23, v51
	s_delay_alu instid0(VALU_DEP_2) | instskip(NEXT) | instid1(VALU_DEP_2)
	v_lshrrev_b32_e32 v49, 27, v49
	v_add_nc_u32_e32 v51, v50, v51
	s_delay_alu instid0(VALU_DEP_2) | instskip(NEXT) | instid1(VALU_DEP_2)
	v_add_nc_u32_e32 v49, v48, v49
	v_ashrrev_i32_e32 v66, 9, v51
	s_delay_alu instid0(VALU_DEP_2) | instskip(NEXT) | instid1(VALU_DEP_1)
	v_and_b32_e32 v55, 0xffffffe0, v49
	v_sub_nc_u32_e32 v64, v48, v55
	v_and_b32_e32 v55, 0xfffffe00, v51
	v_ashrrev_i32_e32 v48, 5, v49
	s_delay_alu instid0(VALU_DEP_3) | instskip(NEXT) | instid1(VALU_DEP_3)
	v_lshlrev_b32_e32 v49, 4, v64
	v_sub_nc_u32_e32 v65, v50, v55
	s_delay_alu instid0(VALU_DEP_2) | instskip(NEXT) | instid1(VALU_DEP_2)
	v_lshl_add_u32 v51, v48, 9, v49
	v_cmp_lt_i32_e32 vcc_lo, 15, v65
	s_delay_alu instid0(VALU_DEP_2) | instskip(SKIP_1) | instid1(VALU_DEP_1)
	v_sub_nc_u32_e32 v50, v50, v51
	v_add_co_ci_u32_e64 v49, s13, 0, v66, vcc_lo
	v_sub_nc_u32_e32 v66, v49, v48
	s_delay_alu instid0(VALU_DEP_3)
	v_cmpx_lt_i32_e32 15, v50
	s_cbranch_execz .LBB2_1304
; %bb.1300:                             ;   in Loop: Header=BB2_1213 Depth=2
	s_cbranch_execnz .LBB2_1907
; %bb.1301:                             ;   in Loop: Header=BB2_1213 Depth=2
	ds_load_b64 v[48:49], v0
	v_add_nc_u32_e32 v51, v51, v54
	s_mov_b32 s17, 0
	s_delay_alu instid0(VALU_DEP_1)
	v_ashrrev_i32_e32 v67, 31, v51
.LBB2_1302:                             ;   Parent Loop BB2_55 Depth=1
                                        ;     Parent Loop BB2_1213 Depth=2
                                        ; =>    This Inner Loop Header: Depth=3
	s_waitcnt lgkmcnt(0)
	v_add_co_u32 v68, s13, v48, v51
	s_delay_alu instid0(VALU_DEP_1)
	v_add_co_ci_u32_e64 v69, s13, v49, v67, s13
	v_sub_nc_u32_e32 v50, v50, v99
	v_add_co_u32 v51, s14, v51, v114
	global_load_b128 v[80:83], v[68:69], off slc dlc
	v_sub_nc_u32_e32 v66, v66, v96
	v_cmp_gt_i32_e64 s13, 16, v50
	v_add_co_ci_u32_e64 v67, s14, v67, v115, s14
	s_delay_alu instid0(VALU_DEP_2)
	s_or_b32 s17, s13, s17
	s_waitcnt vmcnt(0)
	global_store_b128 v[68:69], v[80:83], off glc slc dlc
	s_and_not1_b32 exec_lo, exec_lo, s17
	s_cbranch_execnz .LBB2_1302
; %bb.1303:                             ;   in Loop: Header=BB2_1213 Depth=2
	s_or_b32 exec_lo, exec_lo, s17
.LBB2_1304:                             ;   in Loop: Header=BB2_1213 Depth=2
	s_delay_alu instid0(SALU_CYCLE_1) | instskip(SKIP_3) | instid1(VALU_DEP_1)
	s_or_b32 exec_lo, exec_lo, s11
	v_dual_mov_b32 v50, 0 :: v_dual_and_b32 v49, 8, v2
	s_mov_b32 s11, 0
	s_mov_b32 s14, exec_lo
                                        ; implicit-def: $vgpr51
                                        ; implicit-def: $vgpr48
	v_cndmask_b32_e32 v2, v65, v49, vcc_lo
	s_delay_alu instid0(VALU_DEP_1)
	v_cmpx_ne_u32_e32 0, v2
	s_cbranch_execz .LBB2_1306
; %bb.1305:                             ;   in Loop: Header=BB2_1213 Depth=2
	v_cmp_lt_i32_e64 s13, 0, v66
	v_sub_nc_u32_e32 v49, v65, v49
	s_mov_b32 s11, exec_lo
	s_delay_alu instid0(VALU_DEP_2) | instskip(NEXT) | instid1(VALU_DEP_2)
	v_cndmask_b32_e64 v48, 0, v96, s13
	v_cndmask_b32_e32 v49, 0, v49, vcc_lo
	s_delay_alu instid0(VALU_DEP_2) | instskip(NEXT) | instid1(VALU_DEP_2)
	v_sub_nc_u32_e32 v48, v48, v66
	v_add3_u32 v50, v55, v54, v49
	s_delay_alu instid0(VALU_DEP_2) | instskip(NEXT) | instid1(VALU_DEP_1)
	v_lshl_add_u32 v51, v48, 5, v64
	v_ashrrev_i32_e32 v48, 31, v51
	s_delay_alu instid0(VALU_DEP_1) | instskip(NEXT) | instid1(VALU_DEP_1)
	v_lshrrev_b32_e32 v48, 27, v48
	v_add_nc_u32_e32 v48, v51, v48
	s_delay_alu instid0(VALU_DEP_1) | instskip(SKIP_1) | instid1(VALU_DEP_2)
	v_and_b32_e32 v64, 0xffffffe0, v48
	v_ashrrev_i32_e32 v48, 5, v48
	v_sub_nc_u32_e32 v51, v51, v64
.LBB2_1306:                             ;   in Loop: Header=BB2_1213 Depth=2
	s_or_b32 exec_lo, exec_lo, s14
	s_delay_alu instid0(SALU_CYCLE_1)
	s_and_b32 s11, s11, exec_lo
.LBB2_1307:                             ;   in Loop: Header=BB2_1213 Depth=2
	s_or_b32 exec_lo, exec_lo, s5
.LBB2_1308:                             ;   in Loop: Header=BB2_1213 Depth=2
	s_and_saveexec_b32 s5, s11
	s_cbranch_execz .LBB2_1320
; %bb.1309:                             ;   in Loop: Header=BB2_1213 Depth=2
	v_ashrrev_i32_e32 v49, 31, v2
	v_lshlrev_b32_e32 v55, 3, v51
	s_mov_b32 s11, exec_lo
	s_delay_alu instid0(VALU_DEP_2) | instskip(NEXT) | instid1(VALU_DEP_2)
	v_lshrrev_b32_e32 v49, 24, v49
	v_lshl_add_u32 v66, v48, 8, v55
	s_delay_alu instid0(VALU_DEP_2) | instskip(NEXT) | instid1(VALU_DEP_2)
	v_add_nc_u32_e32 v49, v2, v49
	v_sub_nc_u32_e32 v65, v2, v66
	s_delay_alu instid0(VALU_DEP_2) | instskip(SKIP_1) | instid1(VALU_DEP_2)
	v_and_b32_e32 v54, 0xffffff00, v49
	v_ashrrev_i32_e32 v49, 8, v49
	v_sub_nc_u32_e32 v55, v2, v54
	s_delay_alu instid0(VALU_DEP_2) | instskip(NEXT) | instid1(VALU_DEP_2)
	v_sub_nc_u32_e32 v48, v49, v48
	v_cmp_lt_i32_e32 vcc_lo, 7, v55
	s_delay_alu instid0(VALU_DEP_2)
	v_add_co_ci_u32_e64 v64, s13, 0, v48, vcc_lo
	v_cmpx_lt_i32_e32 7, v65
	s_cbranch_execz .LBB2_1314
; %bb.1310:                             ;   in Loop: Header=BB2_1213 Depth=2
	s_cbranch_execnz .LBB2_1845
; %bb.1311:                             ;   in Loop: Header=BB2_1213 Depth=2
	ds_load_b64 v[48:49], v0
	v_add_nc_u32_e32 v66, v66, v50
	s_mov_b32 s17, 0
	s_delay_alu instid0(VALU_DEP_1)
	v_ashrrev_i32_e32 v67, 31, v66
.LBB2_1312:                             ;   Parent Loop BB2_55 Depth=1
                                        ;     Parent Loop BB2_1213 Depth=2
                                        ; =>    This Inner Loop Header: Depth=3
	s_waitcnt lgkmcnt(0)
	v_add_co_u32 v68, s13, v48, v66
	s_delay_alu instid0(VALU_DEP_1)
	v_add_co_ci_u32_e64 v69, s13, v49, v67, s13
	v_sub_nc_u32_e32 v65, v65, v101
	v_add_co_u32 v66, s14, v66, v117
	flat_load_b64 v[80:81], v[68:69] slc dlc
	v_sub_nc_u32_e32 v64, v64, v96
	v_cmp_gt_i32_e64 s13, 8, v65
	v_add_co_ci_u32_e64 v67, s14, v67, v118, s14
	s_delay_alu instid0(VALU_DEP_2)
	s_or_b32 s17, s13, s17
	s_waitcnt vmcnt(0) lgkmcnt(0)
	flat_store_b64 v[68:69], v[80:81] glc slc dlc
	s_and_not1_b32 exec_lo, exec_lo, s17
	s_cbranch_execnz .LBB2_1312
; %bb.1313:                             ;   in Loop: Header=BB2_1213 Depth=2
	s_or_b32 exec_lo, exec_lo, s17
.LBB2_1314:                             ;   in Loop: Header=BB2_1213 Depth=2
	s_delay_alu instid0(SALU_CYCLE_1) | instskip(SKIP_2) | instid1(VALU_DEP_1)
	s_or_b32 exec_lo, exec_lo, s11
	v_and_b32_e32 v48, 7, v2
	s_mov_b32 s11, exec_lo
	v_cndmask_b32_e32 v2, v55, v48, vcc_lo
	s_delay_alu instid0(VALU_DEP_1)
	v_cmpx_ne_u32_e32 0, v2
	s_cbranch_execz .LBB2_1319
; %bb.1315:                             ;   in Loop: Header=BB2_1213 Depth=2
	v_cmp_lt_i32_e64 s13, 0, v64
	s_delay_alu instid0(VALU_DEP_1) | instskip(NEXT) | instid1(VALU_DEP_1)
	v_cndmask_b32_e64 v49, 0, v96, s13
	v_sub_nc_u32_e32 v49, v49, v64
	s_delay_alu instid0(VALU_DEP_1) | instskip(NEXT) | instid1(VALU_DEP_1)
	v_lshl_add_u32 v49, v49, 5, v51
	v_ashrrev_i32_e32 v51, 31, v49
	s_delay_alu instid0(VALU_DEP_1) | instskip(NEXT) | instid1(VALU_DEP_1)
	v_lshrrev_b32_e32 v51, 27, v51
	v_add_nc_u32_e32 v51, v49, v51
	s_delay_alu instid0(VALU_DEP_1) | instskip(SKIP_1) | instid1(VALU_DEP_2)
	v_and_b32_e32 v64, 0x1fffffe0, v51
	v_lshlrev_b32_e32 v51, 3, v51
	v_sub_nc_u32_e32 v49, v49, v64
	s_delay_alu instid0(VALU_DEP_2) | instskip(NEXT) | instid1(VALU_DEP_1)
	v_and_b32_e32 v51, 0xffffff00, v51
	v_lshl_add_u32 v51, v49, 3, v51
	s_delay_alu instid0(VALU_DEP_1) | instskip(NEXT) | instid1(VALU_DEP_1)
	v_sub_nc_u32_e32 v2, v2, v51
	v_cmp_lt_i32_e64 s13, 7, v2
	s_delay_alu instid0(VALU_DEP_1)
	s_and_b32 exec_lo, exec_lo, s13
	s_cbranch_execz .LBB2_1319
; %bb.1316:                             ;   in Loop: Header=BB2_1213 Depth=2
	s_cbranch_execnz .LBB2_1901
; %bb.1317:                             ;   in Loop: Header=BB2_1213 Depth=2
	v_sub_nc_u32_e32 v55, v55, v48
	ds_load_b64 v[48:49], v0
	v_add_nc_u32_e32 v50, v54, v50
	s_mov_b32 s14, 0
	v_cndmask_b32_e32 v54, 0, v55, vcc_lo
	s_delay_alu instid0(VALU_DEP_1) | instskip(NEXT) | instid1(VALU_DEP_1)
	v_add3_u32 v50, v50, v54, v51
	v_ashrrev_i32_e32 v51, 31, v50
.LBB2_1318:                             ;   Parent Loop BB2_55 Depth=1
                                        ;     Parent Loop BB2_1213 Depth=2
                                        ; =>    This Inner Loop Header: Depth=3
	s_waitcnt lgkmcnt(0)
	v_add_co_u32 v54, vcc_lo, v48, v50
	s_delay_alu instid0(VALU_DEP_2)
	v_add_co_ci_u32_e32 v55, vcc_lo, v49, v51, vcc_lo
	v_sub_nc_u32_e32 v2, v2, v101
	v_add_co_u32 v50, s13, v50, v117
	flat_load_b64 v[64:65], v[54:55] slc dlc
	v_add_co_ci_u32_e64 v51, s13, v51, v118, s13
	v_cmp_gt_i32_e32 vcc_lo, 8, v2
	s_or_b32 s14, vcc_lo, s14
	s_waitcnt vmcnt(0) lgkmcnt(0)
	flat_store_b64 v[54:55], v[64:65] glc slc dlc
	s_and_not1_b32 exec_lo, exec_lo, s14
	s_cbranch_execnz .LBB2_1318
.LBB2_1319:                             ;   in Loop: Header=BB2_1213 Depth=2
	s_or_b32 exec_lo, exec_lo, s11
.LBB2_1320:                             ;   in Loop: Header=BB2_1213 Depth=2
	s_delay_alu instid0(SALU_CYCLE_1)
	s_or_b32 exec_lo, exec_lo, s5
.LBB2_1321:                             ;   in Loop: Header=BB2_1213 Depth=2
	s_and_saveexec_b32 s5, s3
	s_cbranch_execz .LBB2_1343
; %bb.1322:                             ;   in Loop: Header=BB2_1213 Depth=2
	s_and_saveexec_b32 s11, s4
	s_delay_alu instid0(SALU_CYCLE_1)
	s_xor_b32 s11, exec_lo, s11
	s_cbranch_execz .LBB2_1340
; %bb.1323:                             ;   in Loop: Header=BB2_1213 Depth=2
	s_and_saveexec_b32 s13, s1
	s_cbranch_execz .LBB2_1339
; %bb.1324:                             ;   in Loop: Header=BB2_1213 Depth=2
	s_mov_b32 s17, exec_lo
	s_mov_b32 s14, exec_lo
	v_mbcnt_lo_u32_b32 v2, s17, 0
	s_waitcnt lgkmcnt(0)
	s_waitcnt_vscnt null, 0x0
	buffer_gl1_inv
	buffer_gl0_inv
	v_cmpx_eq_u32_e32 0, v2
	s_cbranch_execz .LBB2_1326
; %bb.1325:                             ;   in Loop: Header=BB2_1213 Depth=2
	s_bcnt1_i32_b32 s17, s17
	s_delay_alu instid0(SALU_CYCLE_1)
	v_mov_b32_e32 v2, s17
	ds_add_u64 v0, v[2:3]
	s_cbranch_execnz .LBB2_1887
.LBB2_1326:                             ;   in Loop: Header=BB2_1213 Depth=2
	s_or_b32 exec_lo, exec_lo, s14
	s_cbranch_execnz .LBB2_1863
; %bb.1327:                             ;   in Loop: Header=BB2_1213 Depth=2
	ds_load_b64 v[48:49], v0
	v_add_co_u32 v12, vcc_lo, v12, v96
	v_add_co_ci_u32_e32 v13, vcc_lo, 0, v13, vcc_lo
	s_mov_b32 s14, exec_lo
	s_waitcnt lgkmcnt(0)
	s_delay_alu instid0(VALU_DEP_1)
	v_cmpx_lt_u64_e64 v[48:49], v[12:13]
	s_cbranch_execz .LBB2_1338
; %bb.1328:                             ;   in Loop: Header=BB2_1213 Depth=2
	s_mov_b32 s17, 0
	s_mov_b32 s34, 0
                                        ; implicit-def: $sgpr26
                                        ; implicit-def: $vcc_hi
	s_branch .LBB2_1330
.LBB2_1329:                             ;   in Loop: Header=BB2_1330 Depth=3
	s_or_b32 exec_lo, exec_lo, s36
	s_delay_alu instid0(SALU_CYCLE_1) | instskip(NEXT) | instid1(SALU_CYCLE_1)
	s_and_b32 vcc_lo, exec_lo, vcc_lo
	s_or_b32 s17, vcc_lo, s17
	s_and_not1_b32 s26, s26, exec_lo
	s_and_b32 vcc_lo, vcc_hi, exec_lo
	s_delay_alu instid0(SALU_CYCLE_1)
	s_or_b32 s26, s26, vcc_lo
	s_and_not1_b32 exec_lo, exec_lo, s17
	s_cbranch_execz .LBB2_1336
.LBB2_1330:                             ;   Parent Loop BB2_55 Depth=1
                                        ;     Parent Loop BB2_1213 Depth=2
                                        ; =>    This Inner Loop Header: Depth=3
	s_add_i32 s34, s34, 1
                                        ; implicit-def: $sgpr36
	s_delay_alu instid0(SALU_CYCLE_1) | instskip(SKIP_1) | instid1(SALU_CYCLE_1)
	s_cmpk_lg_i32 s34, 0x2710
	s_cselect_b32 s35, -1, 0
	s_and_b32 vcc_lo, exec_lo, s35
	s_cbranch_vccz .LBB2_1334
.LBB2_1331:                             ;   in Loop: Header=BB2_1330 Depth=3
	s_and_not1_b32 vcc_hi, vcc_hi, exec_lo
	s_and_b32 s36, s36, exec_lo
	s_mov_b32 vcc_lo, -1
	s_or_b32 vcc_hi, vcc_hi, s36
	s_and_saveexec_b32 s36, s35
	s_cbranch_execz .LBB2_1329
; %bb.1332:                             ;   in Loop: Header=BB2_1330 Depth=3
	s_sleep 1
	s_cbranch_execnz .LBB2_1921
; %bb.1333:                             ;   in Loop: Header=BB2_1330 Depth=3
	ds_load_b64 v[48:49], v0
	s_waitcnt lgkmcnt(0)
	v_cmp_ge_u64_e32 vcc_lo, v[48:49], v[12:13]
	s_and_not1_b32 vcc_hi, vcc_hi, exec_lo
	s_or_not1_b32 vcc_lo, vcc_lo, exec_lo
	s_branch .LBB2_1329
.LBB2_1334:                             ;   in Loop: Header=BB2_1330 Depth=3
	s_cbranch_execnz .LBB2_1931
; %bb.1335:                             ;   in Loop: Header=BB2_1330 Depth=3
	ds_load_b64 v[48:49], v0
	s_and_not1_b32 s35, s35, exec_lo
	s_mov_b32 s34, 0
	s_mov_b32 s36, -1
	s_waitcnt lgkmcnt(0)
	flat_load_b32 v2, v[48:49] glc
	s_waitcnt vmcnt(0) lgkmcnt(0)
	buffer_gl1_inv
	buffer_gl0_inv
	v_cmp_eq_u32_e32 vcc_lo, 0, v2
	s_and_b32 vcc_lo, vcc_lo, exec_lo
	s_delay_alu instid0(SALU_CYCLE_1)
	s_or_b32 s35, s35, vcc_lo
	s_branch .LBB2_1331
.LBB2_1336:                             ;   in Loop: Header=BB2_1213 Depth=2
	s_or_b32 exec_lo, exec_lo, s17
	s_and_saveexec_b32 s17, s26
	s_delay_alu instid0(SALU_CYCLE_1)
	s_xor_b32 s17, exec_lo, s17
	s_cbranch_execz .LBB2_1338
; %bb.1337:                             ;   in Loop: Header=BB2_1213 Depth=2
	ds_store_b32 v0, v129
	s_cbranch_execnz .LBB2_1985
.LBB2_1338:                             ;   in Loop: Header=BB2_1213 Depth=2
	s_or_b32 exec_lo, exec_lo, s14
	;;#ASMSTART
	s_wakeup
	;;#ASMEND
.LBB2_1339:                             ;   in Loop: Header=BB2_1213 Depth=2
	s_or_b32 exec_lo, exec_lo, s13
.LBB2_1340:                             ;   in Loop: Header=BB2_1213 Depth=2
	s_and_not1_saveexec_b32 s11, s11
	s_cbranch_execz .LBB2_1342
; %bb.1341:                             ;   in Loop: Header=BB2_1213 Depth=2
	s_waitcnt lgkmcnt(0)
	s_waitcnt_vscnt null, 0x0
	buffer_gl1_inv
	buffer_gl0_inv
	s_barrier
.LBB2_1342:                             ;   in Loop: Header=BB2_1213 Depth=2
	s_or_b32 exec_lo, exec_lo, s11
.LBB2_1343:                             ;   in Loop: Header=BB2_1213 Depth=2
	s_delay_alu instid0(SALU_CYCLE_1) | instskip(SKIP_1) | instid1(SALU_CYCLE_1)
	s_or_b32 exec_lo, exec_lo, s5
	s_and_saveexec_b32 s5, s7
	s_xor_b32 s5, exec_lo, s5
	s_cbranch_execz .LBB2_1347
; %bb.1344:                             ;   in Loop: Header=BB2_1213 Depth=2
	v_and_b32_e32 v2, 16, v30
	v_cmp_lt_i32_e32 vcc_lo, 0, v9
	s_delay_alu instid0(VALU_DEP_2) | instskip(NEXT) | instid1(VALU_DEP_1)
	v_cmp_ne_u32_e64 s13, 0, v2
	s_and_b32 s13, s13, vcc_lo
	s_delay_alu instid0(SALU_CYCLE_1)
	s_and_saveexec_b32 s11, s13
	s_cbranch_execz .LBB2_1346
; %bb.1345:                             ;   in Loop: Header=BB2_1213 Depth=2
	s_waitcnt lgkmcnt(0)
	s_waitcnt_vscnt null, 0x0
	buffer_gl1_inv
	buffer_gl0_inv
.LBB2_1346:                             ;   in Loop: Header=BB2_1213 Depth=2
	s_or_b32 exec_lo, exec_lo, s11
.LBB2_1347:                             ;   in Loop: Header=BB2_1213 Depth=2
	s_and_not1_saveexec_b32 s5, s5
	s_cbranch_execz .LBB2_1369
; %bb.1348:                             ;   in Loop: Header=BB2_1213 Depth=2
	s_and_saveexec_b32 s11, s4
	s_delay_alu instid0(SALU_CYCLE_1)
	s_xor_b32 s11, exec_lo, s11
	s_cbranch_execz .LBB2_1366
; %bb.1349:                             ;   in Loop: Header=BB2_1213 Depth=2
	s_and_saveexec_b32 s13, s1
	s_cbranch_execz .LBB2_1365
; %bb.1350:                             ;   in Loop: Header=BB2_1213 Depth=2
	s_mov_b32 s17, exec_lo
	s_mov_b32 s14, exec_lo
	v_mbcnt_lo_u32_b32 v2, s17, 0
	;;#ASMSTART
	s_waitcnt lgkmcnt(0) vmcnt(0)
	;;#ASMEND
	s_delay_alu instid0(VALU_DEP_1)
	v_cmpx_eq_u32_e32 0, v2
	s_cbranch_execz .LBB2_1352
; %bb.1351:                             ;   in Loop: Header=BB2_1213 Depth=2
	s_bcnt1_i32_b32 s17, s17
	s_delay_alu instid0(SALU_CYCLE_1)
	v_mov_b32_e32 v2, s17
	ds_add_u64 v0, v[2:3]
	s_cbranch_execnz .LBB2_1893
.LBB2_1352:                             ;   in Loop: Header=BB2_1213 Depth=2
	s_or_b32 exec_lo, exec_lo, s14
	s_cbranch_execnz .LBB2_1873
; %bb.1353:                             ;   in Loop: Header=BB2_1213 Depth=2
	ds_load_b64 v[48:49], v0
	v_add_co_u32 v12, vcc_lo, v12, v96
	v_add_co_ci_u32_e32 v13, vcc_lo, 0, v13, vcc_lo
	s_mov_b32 s14, exec_lo
	s_waitcnt lgkmcnt(0)
	s_delay_alu instid0(VALU_DEP_1)
	v_cmpx_lt_u64_e64 v[48:49], v[12:13]
	s_cbranch_execz .LBB2_1364
; %bb.1354:                             ;   in Loop: Header=BB2_1213 Depth=2
	s_mov_b32 s17, 0
	s_mov_b32 s34, 0
                                        ; implicit-def: $sgpr26
                                        ; implicit-def: $vcc_hi
	s_branch .LBB2_1356
.LBB2_1355:                             ;   in Loop: Header=BB2_1356 Depth=3
	s_or_b32 exec_lo, exec_lo, s36
	s_delay_alu instid0(SALU_CYCLE_1) | instskip(NEXT) | instid1(SALU_CYCLE_1)
	s_and_b32 vcc_lo, exec_lo, vcc_lo
	s_or_b32 s17, vcc_lo, s17
	s_and_not1_b32 s26, s26, exec_lo
	s_and_b32 vcc_lo, vcc_hi, exec_lo
	s_delay_alu instid0(SALU_CYCLE_1)
	s_or_b32 s26, s26, vcc_lo
	s_and_not1_b32 exec_lo, exec_lo, s17
	s_cbranch_execz .LBB2_1362
.LBB2_1356:                             ;   Parent Loop BB2_55 Depth=1
                                        ;     Parent Loop BB2_1213 Depth=2
                                        ; =>    This Inner Loop Header: Depth=3
	s_add_i32 s34, s34, 1
                                        ; implicit-def: $sgpr36
	s_delay_alu instid0(SALU_CYCLE_1) | instskip(SKIP_1) | instid1(SALU_CYCLE_1)
	s_cmpk_lg_i32 s34, 0x2710
	s_cselect_b32 s35, -1, 0
	s_and_b32 vcc_lo, exec_lo, s35
	s_cbranch_vccnz .LBB2_1359
; %bb.1357:                             ;   in Loop: Header=BB2_1356 Depth=3
	s_cbranch_execnz .LBB2_1939
; %bb.1358:                             ;   in Loop: Header=BB2_1356 Depth=3
	ds_load_b64 v[48:49], v0
	s_and_not1_b32 s35, s35, exec_lo
	s_mov_b32 s34, 0
	s_mov_b32 s36, -1
	s_waitcnt lgkmcnt(0)
	s_waitcnt_vscnt null, 0x0
	flat_load_b32 v2, v[48:49] glc
	s_waitcnt vmcnt(0) lgkmcnt(0)
	buffer_gl1_inv
	buffer_gl0_inv
	v_cmp_eq_u32_e32 vcc_lo, 0, v2
	s_and_b32 vcc_lo, vcc_lo, exec_lo
	s_delay_alu instid0(SALU_CYCLE_1)
	s_or_b32 s35, s35, vcc_lo
.LBB2_1359:                             ;   in Loop: Header=BB2_1356 Depth=3
	s_and_not1_b32 vcc_hi, vcc_hi, exec_lo
	s_and_b32 s36, s36, exec_lo
	s_mov_b32 vcc_lo, -1
	s_or_b32 vcc_hi, vcc_hi, s36
	s_and_saveexec_b32 s36, s35
	s_cbranch_execz .LBB2_1355
; %bb.1360:                             ;   in Loop: Header=BB2_1356 Depth=3
	s_sleep 1
	s_cbranch_execnz .LBB2_1925
; %bb.1361:                             ;   in Loop: Header=BB2_1356 Depth=3
	ds_load_b64 v[48:49], v0
	s_waitcnt lgkmcnt(0)
	v_cmp_ge_u64_e32 vcc_lo, v[48:49], v[12:13]
	s_and_not1_b32 vcc_hi, vcc_hi, exec_lo
	s_or_not1_b32 vcc_lo, vcc_lo, exec_lo
	s_branch .LBB2_1355
.LBB2_1362:                             ;   in Loop: Header=BB2_1213 Depth=2
	s_or_b32 exec_lo, exec_lo, s17
	s_and_saveexec_b32 s17, s26
	s_delay_alu instid0(SALU_CYCLE_1)
	s_xor_b32 s17, exec_lo, s17
	s_cbranch_execz .LBB2_1364
; %bb.1363:                             ;   in Loop: Header=BB2_1213 Depth=2
	ds_store_b32 v0, v129
	s_cbranch_execnz .LBB2_1987
.LBB2_1364:                             ;   in Loop: Header=BB2_1213 Depth=2
	s_or_b32 exec_lo, exec_lo, s14
	;;#ASMSTART
	s_wakeup
	;;#ASMEND
.LBB2_1365:                             ;   in Loop: Header=BB2_1213 Depth=2
	s_or_b32 exec_lo, exec_lo, s13
.LBB2_1366:                             ;   in Loop: Header=BB2_1213 Depth=2
	s_and_not1_saveexec_b32 s11, s11
	s_cbranch_execz .LBB2_1368
; %bb.1367:                             ;   in Loop: Header=BB2_1213 Depth=2
	;;#ASMSTART
	s_waitcnt lgkmcnt(0) vmcnt(0)
	;;#ASMEND
	s_waitcnt lgkmcnt(0)
	s_waitcnt_vscnt null, 0x0
	s_barrier
.LBB2_1368:                             ;   in Loop: Header=BB2_1213 Depth=2
	s_or_b32 exec_lo, exec_lo, s11
.LBB2_1369:                             ;   in Loop: Header=BB2_1213 Depth=2
	s_delay_alu instid0(SALU_CYCLE_1) | instskip(SKIP_2) | instid1(VALU_DEP_1)
	s_or_b32 exec_lo, exec_lo, s5
	v_and_b32_e32 v2, 32, v30
	s_mov_b32 s5, exec_lo
	v_cmpx_ne_u32_e32 0, v2
	s_cbranch_execz .LBB2_1371
; %bb.1370:                             ;   in Loop: Header=BB2_1213 Depth=2
	v_add_co_u32 v22, vcc_lo, v22, 2
	v_add_co_ci_u32_e32 v23, vcc_lo, 0, v23, vcc_lo
	s_waitcnt lgkmcnt(0)
	s_waitcnt_vscnt null, 0x0
	flat_store_b64 v[20:21], v[22:23]
.LBB2_1371:                             ;   in Loop: Header=BB2_1213 Depth=2
	s_or_b32 exec_lo, exec_lo, s5
	v_add_nc_u32_e32 v8, v53, v8
	s_xor_b32 s5, s30, -1
	v_mov_b32_e32 v2, s31
	s_mov_b32 s30, 0
	s_mov_b32 s31, 2
	v_cmp_ge_i32_e32 vcc_lo, v8, v52
	s_or_b32 s5, s5, vcc_lo
	s_delay_alu instid0(SALU_CYCLE_1) | instskip(NEXT) | instid1(SALU_CYCLE_1)
	s_and_b32 s5, exec_lo, s5
	s_or_b32 s21, s5, s21
	s_delay_alu instid0(SALU_CYCLE_1)
	s_and_not1_b32 exec_lo, exec_lo, s21
	s_cbranch_execnz .LBB2_1213
; %bb.1372:                             ;   in Loop: Header=BB2_55 Depth=1
	s_or_b32 exec_lo, exec_lo, s21
.LBB2_1373:                             ;   in Loop: Header=BB2_55 Depth=1
	s_delay_alu instid0(SALU_CYCLE_1) | instskip(NEXT) | instid1(SALU_CYCLE_1)
	s_or_b32 exec_lo, exec_lo, s15
	s_mov_b32 s14, exec_lo
	v_cmpx_gt_i32_e32 2, v2
	s_cbranch_execz .LBB2_1452
; %bb.1374:                             ;   in Loop: Header=BB2_55 Depth=1
	v_cmp_eq_u32_e64 s5, 0, v2
	s_mov_b32 s15, 0
.LBB2_1375:                             ;   Parent Loop BB2_55 Depth=1
                                        ; =>  This Loop Header: Depth=2
                                        ;       Child Loop BB2_1381 Depth 3
                                        ;       Child Loop BB2_1408 Depth 3
	;; [unrolled: 1-line block ×3, first 2 shown]
	v_and_b32_e32 v2, 4, v30
	s_mov_b32 s13, -1
	s_mov_b32 s11, exec_lo
	s_delay_alu instid0(VALU_DEP_1)
	v_cmpx_ne_u32_e32 0, v2
	s_cbranch_execz .LBB2_1389
; %bb.1376:                             ;   in Loop: Header=BB2_1375 Depth=2
	v_add_co_u32 v9, vcc_lo, v22, 2
	v_add_co_ci_u32_e32 v10, vcc_lo, 0, v23, vcc_lo
	v_mov_b32_e32 v2, 1
	s_mov_b32 s13, exec_lo
	s_delay_alu instid0(VALU_DEP_2)
	v_cmpx_lt_u64_e64 v[28:29], v[9:10]
	s_cbranch_execz .LBB2_1388
; %bb.1377:                             ;   in Loop: Header=BB2_1375 Depth=2
	v_mov_b32_e32 v2, 0
	s_mov_b32 s17, 0
                                        ; implicit-def: $sgpr21
	s_branch .LBB2_1381
.LBB2_1378:                             ;   in Loop: Header=BB2_1381 Depth=3
	s_or_b32 exec_lo, exec_lo, s31
	v_mov_b32_e32 v11, 0
	s_or_not1_b32 s30, s30, exec_lo
.LBB2_1379:                             ;   in Loop: Header=BB2_1381 Depth=3
	s_or_b32 exec_lo, exec_lo, vcc_hi
	s_delay_alu instid0(VALU_DEP_1) | instskip(SKIP_2) | instid1(SALU_CYCLE_1)
	v_mov_b32_e32 v2, v11
	s_and_not1_b32 s21, s21, exec_lo
	s_and_b32 vcc_lo, s30, exec_lo
	s_or_b32 s21, s21, vcc_lo
.LBB2_1380:                             ;   in Loop: Header=BB2_1381 Depth=3
	s_or_b32 exec_lo, exec_lo, s26
	s_waitcnt vmcnt(0) lgkmcnt(0)
	v_cmp_ge_u64_e32 vcc_lo, v[28:29], v[9:10]
	s_xor_b32 s26, s21, -1
	s_delay_alu instid0(SALU_CYCLE_1) | instskip(NEXT) | instid1(SALU_CYCLE_1)
	s_or_b32 s26, s26, vcc_lo
	s_and_b32 s26, exec_lo, s26
	s_delay_alu instid0(SALU_CYCLE_1) | instskip(NEXT) | instid1(SALU_CYCLE_1)
	s_or_b32 s17, s26, s17
	s_and_not1_b32 exec_lo, exec_lo, s17
	s_cbranch_execz .LBB2_1387
.LBB2_1381:                             ;   Parent Loop BB2_55 Depth=1
                                        ;     Parent Loop BB2_1375 Depth=2
                                        ; =>    This Inner Loop Header: Depth=3
	s_sleep 1
	flat_load_b64 v[28:29], v[20:21] glc
	v_and_b32_e32 v11, 64, v30
	s_and_not1_b32 s21, s21, exec_lo
	s_mov_b32 s26, exec_lo
	s_delay_alu instid0(VALU_DEP_1)
	v_cmpx_eq_u32_e32 0, v11
	s_cbranch_execz .LBB2_1380
; %bb.1382:                             ;   in Loop: Header=BB2_1381 Depth=3
	v_add_nc_u32_e32 v11, 1, v2
	s_mov_b32 s30, -1
	s_mov_b32 vcc_hi, exec_lo
	v_cmpx_lt_i32_e32 0x270e, v2
	s_cbranch_execz .LBB2_1379
; %bb.1383:                             ;   in Loop: Header=BB2_1381 Depth=3
	s_cbranch_execnz .LBB2_1659
; %bb.1384:                             ;   in Loop: Header=BB2_1381 Depth=3
	ds_load_b64 v[48:49], v0
	s_mov_b32 s31, exec_lo
	s_waitcnt vmcnt(0) lgkmcnt(0)
	s_waitcnt_vscnt null, 0x0
	flat_load_b32 v2, v[48:49] glc
	s_waitcnt vmcnt(0) lgkmcnt(0)
	buffer_gl1_inv
	buffer_gl0_inv
	v_cmpx_ne_u32_e32 0, v2
	s_cbranch_execz .LBB2_1378
; %bb.1385:                             ;   in Loop: Header=BB2_1381 Depth=3
	ds_store_b32 v0, v2
	s_cbranch_execnz .LBB2_1737
; %bb.1386:                             ;   in Loop: Header=BB2_1381 Depth=3
	v_or_b32_e32 v30, 64, v30
	s_xor_b32 s30, exec_lo, -1
	s_branch .LBB2_1378
.LBB2_1387:                             ;   in Loop: Header=BB2_1375 Depth=2
	s_or_b32 exec_lo, exec_lo, s17
	v_and_b32_e32 v2, 4, v30
.LBB2_1388:                             ;   in Loop: Header=BB2_1375 Depth=2
	s_or_b32 exec_lo, exec_lo, s13
	s_delay_alu instid0(VALU_DEP_1)
	v_cmp_eq_u32_e32 vcc_lo, 0, v2
	;;#ASMSTART
	s_wakeup
	;;#ASMEND
	s_or_not1_b32 s13, vcc_lo, exec_lo
.LBB2_1389:                             ;   in Loop: Header=BB2_1375 Depth=2
	s_or_b32 exec_lo, exec_lo, s11
	s_xor_b32 s5, s5, -1
	s_delay_alu instid0(SALU_CYCLE_1) | instskip(NEXT) | instid1(SALU_CYCLE_1)
	s_and_b32 s5, exec_lo, s5
	s_or_b32 s15, s5, s15
	s_xor_b32 s11, s13, -1
	s_delay_alu instid0(SALU_CYCLE_1)
	s_and_saveexec_b32 s5, s11
	s_cbranch_execz .LBB2_1399
; %bb.1390:                             ;   in Loop: Header=BB2_1375 Depth=2
	v_and_b32_e32 v2, 0x100, v30
	s_mov_b32 s13, -1
                                        ; implicit-def: $vgpr9_vgpr10
	s_delay_alu instid0(VALU_DEP_1)
	v_cmp_ne_u32_e32 vcc_lo, 0, v2
	v_and_b32_e32 v2, 7, v22
	s_and_saveexec_b32 s11, vcc_lo
	s_cbranch_execz .LBB2_1394
; %bb.1391:                             ;   in Loop: Header=BB2_1375 Depth=2
	s_delay_alu instid0(VALU_DEP_1) | instskip(SKIP_4) | instid1(VALU_DEP_1)
	v_mad_u64_u32 v[48:49], null, v2, 24, v[6:7]
	flat_load_b32 v9, v[48:49]
	s_waitcnt vmcnt(0) lgkmcnt(0)
	v_cmp_ne_u32_e32 vcc_lo, 1, v9
	v_cmp_eq_u32_e64 s13, 1, v9
                                        ; implicit-def: $vgpr9_vgpr10
	s_and_saveexec_b32 s17, s13
	s_cbranch_execz .LBB2_1393
; %bb.1392:                             ;   in Loop: Header=BB2_1375 Depth=2
	flat_load_b32 v9, v[48:49] offset:4 glc
	s_waitcnt vmcnt(0) lgkmcnt(0)
	v_ashrrev_i32_e32 v10, 31, v9
	s_delay_alu instid0(VALU_DEP_1)
	v_lshrrev_b64 v[9:10], 3, v[9:10]
.LBB2_1393:                             ;   in Loop: Header=BB2_1375 Depth=2
	s_or_b32 exec_lo, exec_lo, s17
	s_delay_alu instid0(SALU_CYCLE_1)
	s_or_not1_b32 s13, vcc_lo, exec_lo
.LBB2_1394:                             ;   in Loop: Header=BB2_1375 Depth=2
	s_or_b32 exec_lo, exec_lo, s11
	s_and_saveexec_b32 s11, s13
; %bb.1395:                             ;   in Loop: Header=BB2_1375 Depth=2
	v_mad_i64_i32 v[9:10], null, v2, v86, 0
; %bb.1396:                             ;   in Loop: Header=BB2_1375 Depth=2
	s_or_b32 exec_lo, exec_lo, s11
	s_delay_alu instid0(VALU_DEP_1) | instskip(SKIP_2) | instid1(VALU_DEP_2)
	v_lshlrev_b64 v[9:10], 3, v[9:10]
	v_and_b32_e32 v2, 0x2000, v30
	s_mov_b32 s11, exec_lo
	v_add_co_u32 v9, vcc_lo, v24, v9
	s_delay_alu instid0(VALU_DEP_3)
	v_add_co_ci_u32_e32 v10, vcc_lo, v25, v10, vcc_lo
	ds_store_b64 v0, v[9:10] offset:720
	v_cmpx_ne_u32_e32 0, v2
	s_cbranch_execz .LBB2_1398
; %bb.1397:                             ;   in Loop: Header=BB2_1375 Depth=2
	ds_load_b64 v[9:10], v0 offset:584
	s_waitcnt lgkmcnt(0)
	v_add_co_u32 v9, vcc_lo, v9, 1
	v_add_co_ci_u32_e32 v10, vcc_lo, 0, v10, vcc_lo
	ds_store_b64 v0, v[9:10] offset:584
.LBB2_1398:                             ;   in Loop: Header=BB2_1375 Depth=2
	s_or_b32 exec_lo, exec_lo, s11
	v_add_co_u32 v22, vcc_lo, v22, 2
	v_add_co_ci_u32_e32 v23, vcc_lo, 0, v23, vcc_lo
.LBB2_1399:                             ;   in Loop: Header=BB2_1375 Depth=2
	s_or_b32 exec_lo, exec_lo, s5
	s_and_saveexec_b32 s5, s3
	s_cbranch_execz .LBB2_1421
; %bb.1400:                             ;   in Loop: Header=BB2_1375 Depth=2
	s_and_saveexec_b32 s11, s4
	s_delay_alu instid0(SALU_CYCLE_1)
	s_xor_b32 s11, exec_lo, s11
	s_cbranch_execz .LBB2_1418
; %bb.1401:                             ;   in Loop: Header=BB2_1375 Depth=2
	s_and_saveexec_b32 s13, s1
	s_cbranch_execz .LBB2_1417
; %bb.1402:                             ;   in Loop: Header=BB2_1375 Depth=2
	s_mov_b32 s21, exec_lo
	s_mov_b32 s17, exec_lo
	v_mbcnt_lo_u32_b32 v2, s21, 0
	s_waitcnt lgkmcnt(0)
	s_waitcnt_vscnt null, 0x0
	buffer_gl1_inv
	buffer_gl0_inv
	v_cmpx_eq_u32_e32 0, v2
	s_cbranch_execz .LBB2_1404
; %bb.1403:                             ;   in Loop: Header=BB2_1375 Depth=2
	s_bcnt1_i32_b32 s21, s21
	s_delay_alu instid0(SALU_CYCLE_1)
	v_mov_b32_e32 v2, s21
	ds_add_u64 v0, v[2:3]
	s_cbranch_execnz .LBB2_1771
.LBB2_1404:                             ;   in Loop: Header=BB2_1375 Depth=2
	s_or_b32 exec_lo, exec_lo, s17
	s_cbranch_execnz .LBB2_1749
; %bb.1405:                             ;   in Loop: Header=BB2_1375 Depth=2
	ds_load_b64 v[9:10], v0
	v_add_co_u32 v12, vcc_lo, v12, v96
	v_add_co_ci_u32_e32 v13, vcc_lo, 0, v13, vcc_lo
	s_mov_b32 s17, exec_lo
	s_waitcnt lgkmcnt(0)
	s_delay_alu instid0(VALU_DEP_1)
	v_cmpx_lt_u64_e64 v[9:10], v[12:13]
	s_cbranch_execz .LBB2_1416
; %bb.1406:                             ;   in Loop: Header=BB2_1375 Depth=2
	s_mov_b32 s21, 0
	s_mov_b32 s30, 0
                                        ; implicit-def: $sgpr26
                                        ; implicit-def: $vcc_hi
	s_branch .LBB2_1408
.LBB2_1407:                             ;   in Loop: Header=BB2_1408 Depth=3
	s_or_b32 exec_lo, exec_lo, s34
	s_delay_alu instid0(SALU_CYCLE_1) | instskip(NEXT) | instid1(SALU_CYCLE_1)
	s_and_b32 vcc_lo, exec_lo, vcc_lo
	s_or_b32 s21, vcc_lo, s21
	s_and_not1_b32 s26, s26, exec_lo
	s_and_b32 vcc_lo, vcc_hi, exec_lo
	s_delay_alu instid0(SALU_CYCLE_1)
	s_or_b32 s26, s26, vcc_lo
	s_and_not1_b32 exec_lo, exec_lo, s21
	s_cbranch_execz .LBB2_1414
.LBB2_1408:                             ;   Parent Loop BB2_55 Depth=1
                                        ;     Parent Loop BB2_1375 Depth=2
                                        ; =>    This Inner Loop Header: Depth=3
	s_add_i32 s30, s30, 1
                                        ; implicit-def: $sgpr34
	s_delay_alu instid0(SALU_CYCLE_1) | instskip(SKIP_1) | instid1(SALU_CYCLE_1)
	s_cmpk_lg_i32 s30, 0x2710
	s_cselect_b32 s31, -1, 0
	s_and_b32 vcc_lo, exec_lo, s31
	s_cbranch_vccz .LBB2_1412
.LBB2_1409:                             ;   in Loop: Header=BB2_1408 Depth=3
	s_and_not1_b32 vcc_hi, vcc_hi, exec_lo
	s_and_b32 s34, s34, exec_lo
	s_mov_b32 vcc_lo, -1
	s_or_b32 vcc_hi, vcc_hi, s34
	s_and_saveexec_b32 s34, s31
	s_cbranch_execz .LBB2_1407
; %bb.1410:                             ;   in Loop: Header=BB2_1408 Depth=3
	s_sleep 1
	s_cbranch_execnz .LBB2_1823
; %bb.1411:                             ;   in Loop: Header=BB2_1408 Depth=3
	ds_load_b64 v[9:10], v0
	s_waitcnt lgkmcnt(0)
	v_cmp_ge_u64_e32 vcc_lo, v[9:10], v[12:13]
	s_and_not1_b32 vcc_hi, vcc_hi, exec_lo
	s_or_not1_b32 vcc_lo, vcc_lo, exec_lo
	s_branch .LBB2_1407
.LBB2_1412:                             ;   in Loop: Header=BB2_1408 Depth=3
	s_cbranch_execnz .LBB2_1843
; %bb.1413:                             ;   in Loop: Header=BB2_1408 Depth=3
	ds_load_b64 v[9:10], v0
	s_and_not1_b32 s31, s31, exec_lo
	s_mov_b32 s30, 0
	s_mov_b32 s34, -1
	s_waitcnt lgkmcnt(0)
	flat_load_b32 v2, v[9:10] glc
	s_waitcnt vmcnt(0) lgkmcnt(0)
	buffer_gl1_inv
	buffer_gl0_inv
	v_cmp_eq_u32_e32 vcc_lo, 0, v2
	s_and_b32 vcc_lo, vcc_lo, exec_lo
	s_delay_alu instid0(SALU_CYCLE_1)
	s_or_b32 s31, s31, vcc_lo
	s_branch .LBB2_1409
.LBB2_1414:                             ;   in Loop: Header=BB2_1375 Depth=2
	s_or_b32 exec_lo, exec_lo, s21
	s_and_saveexec_b32 s21, s26
	s_delay_alu instid0(SALU_CYCLE_1)
	s_xor_b32 s21, exec_lo, s21
	s_cbranch_execz .LBB2_1416
; %bb.1415:                             ;   in Loop: Header=BB2_1375 Depth=2
	ds_store_b32 v0, v129
	s_cbranch_execnz .LBB2_1965
.LBB2_1416:                             ;   in Loop: Header=BB2_1375 Depth=2
	s_or_b32 exec_lo, exec_lo, s17
	;;#ASMSTART
	s_wakeup
	;;#ASMEND
.LBB2_1417:                             ;   in Loop: Header=BB2_1375 Depth=2
	s_or_b32 exec_lo, exec_lo, s13
.LBB2_1418:                             ;   in Loop: Header=BB2_1375 Depth=2
	s_and_not1_saveexec_b32 s11, s11
	s_cbranch_execz .LBB2_1420
; %bb.1419:                             ;   in Loop: Header=BB2_1375 Depth=2
	s_waitcnt lgkmcnt(0)
	s_waitcnt_vscnt null, 0x0
	buffer_gl1_inv
	buffer_gl0_inv
	s_barrier
.LBB2_1420:                             ;   in Loop: Header=BB2_1375 Depth=2
	s_or_b32 exec_lo, exec_lo, s11
.LBB2_1421:                             ;   in Loop: Header=BB2_1375 Depth=2
	s_delay_alu instid0(SALU_CYCLE_1) | instskip(SKIP_1) | instid1(VALU_DEP_1)
	s_or_b32 exec_lo, exec_lo, s5
	v_sub_nc_u32_e32 v2, v52, v8
	v_min_i32_e32 v53, v53, v2
	s_and_saveexec_b32 s5, s7
	s_delay_alu instid0(SALU_CYCLE_1)
	s_xor_b32 s5, exec_lo, s5
	s_cbranch_execz .LBB2_1426
; %bb.1422:                             ;   in Loop: Header=BB2_1375 Depth=2
	s_cbranch_execnz .LBB2_1655
; %bb.1423:                             ;   in Loop: Header=BB2_1375 Depth=2
	ds_load_b32 v2, v0
	v_cmp_lt_i32_e32 vcc_lo, 0, v53
	s_waitcnt lgkmcnt(0)
	v_readfirstlane_b32 s11, v2
	v_and_b32_e32 v2, 16, v30
	s_delay_alu instid0(VALU_DEP_2) | instskip(NEXT) | instid1(VALU_DEP_1)
	s_cmp_eq_u32 s11, 0
	v_cmp_ne_u32_e64 s13, 0, v2
	s_cselect_b32 s11, -1, 0
	s_delay_alu instid0(SALU_CYCLE_1)
	s_and_b32 s11, vcc_lo, s11
	s_delay_alu instid0(VALU_DEP_1) | instid1(SALU_CYCLE_1)
	s_and_b32 s13, s13, s11
	s_delay_alu instid0(SALU_CYCLE_1)
	s_and_saveexec_b32 s11, s13
	s_cbranch_execz .LBB2_1425
; %bb.1424:                             ;   in Loop: Header=BB2_1375 Depth=2
	s_waitcnt_vscnt null, 0x0
	buffer_gl1_inv
	buffer_gl0_inv
.LBB2_1425:                             ;   in Loop: Header=BB2_1375 Depth=2
	s_or_b32 exec_lo, exec_lo, s11
.LBB2_1426:                             ;   in Loop: Header=BB2_1375 Depth=2
	s_and_not1_saveexec_b32 s5, s5
	s_cbranch_execz .LBB2_1448
; %bb.1427:                             ;   in Loop: Header=BB2_1375 Depth=2
	s_and_saveexec_b32 s11, s4
	s_delay_alu instid0(SALU_CYCLE_1)
	s_xor_b32 s11, exec_lo, s11
	s_cbranch_execz .LBB2_1445
; %bb.1428:                             ;   in Loop: Header=BB2_1375 Depth=2
	s_and_saveexec_b32 s13, s1
	s_cbranch_execz .LBB2_1444
; %bb.1429:                             ;   in Loop: Header=BB2_1375 Depth=2
	s_mov_b32 s21, exec_lo
	s_mov_b32 s17, exec_lo
	v_mbcnt_lo_u32_b32 v2, s21, 0
	;;#ASMSTART
	s_waitcnt lgkmcnt(0) vmcnt(0)
	;;#ASMEND
	s_delay_alu instid0(VALU_DEP_1)
	v_cmpx_eq_u32_e32 0, v2
	s_cbranch_execz .LBB2_1431
; %bb.1430:                             ;   in Loop: Header=BB2_1375 Depth=2
	s_bcnt1_i32_b32 s21, s21
	s_delay_alu instid0(SALU_CYCLE_1)
	v_mov_b32_e32 v2, s21
	ds_add_u64 v0, v[2:3]
	s_cbranch_execnz .LBB2_1797
.LBB2_1431:                             ;   in Loop: Header=BB2_1375 Depth=2
	s_or_b32 exec_lo, exec_lo, s17
	s_cbranch_execnz .LBB2_1769
; %bb.1432:                             ;   in Loop: Header=BB2_1375 Depth=2
	ds_load_b64 v[9:10], v0
	v_add_co_u32 v12, vcc_lo, v12, v96
	v_add_co_ci_u32_e32 v13, vcc_lo, 0, v13, vcc_lo
	s_mov_b32 s17, exec_lo
	s_waitcnt lgkmcnt(0)
	s_delay_alu instid0(VALU_DEP_1)
	v_cmpx_lt_u64_e64 v[9:10], v[12:13]
	s_cbranch_execz .LBB2_1443
; %bb.1433:                             ;   in Loop: Header=BB2_1375 Depth=2
	s_mov_b32 s21, 0
	s_mov_b32 s30, 0
                                        ; implicit-def: $sgpr26
                                        ; implicit-def: $vcc_hi
	s_branch .LBB2_1435
.LBB2_1434:                             ;   in Loop: Header=BB2_1435 Depth=3
	s_or_b32 exec_lo, exec_lo, s34
	s_delay_alu instid0(SALU_CYCLE_1) | instskip(NEXT) | instid1(SALU_CYCLE_1)
	s_and_b32 vcc_lo, exec_lo, vcc_lo
	s_or_b32 s21, vcc_lo, s21
	s_and_not1_b32 s26, s26, exec_lo
	s_and_b32 vcc_lo, vcc_hi, exec_lo
	s_delay_alu instid0(SALU_CYCLE_1)
	s_or_b32 s26, s26, vcc_lo
	s_and_not1_b32 exec_lo, exec_lo, s21
	s_cbranch_execz .LBB2_1441
.LBB2_1435:                             ;   Parent Loop BB2_55 Depth=1
                                        ;     Parent Loop BB2_1375 Depth=2
                                        ; =>    This Inner Loop Header: Depth=3
	s_add_i32 s30, s30, 1
                                        ; implicit-def: $sgpr34
	s_delay_alu instid0(SALU_CYCLE_1) | instskip(SKIP_1) | instid1(SALU_CYCLE_1)
	s_cmpk_lg_i32 s30, 0x2710
	s_cselect_b32 s31, -1, 0
	s_and_b32 vcc_lo, exec_lo, s31
	s_cbranch_vccz .LBB2_1439
.LBB2_1436:                             ;   in Loop: Header=BB2_1435 Depth=3
	s_and_not1_b32 vcc_hi, vcc_hi, exec_lo
	s_and_b32 s34, s34, exec_lo
	s_mov_b32 vcc_lo, -1
	s_or_b32 vcc_hi, vcc_hi, s34
	s_and_saveexec_b32 s34, s31
	s_cbranch_execz .LBB2_1434
; %bb.1437:                             ;   in Loop: Header=BB2_1435 Depth=3
	s_sleep 1
	s_cbranch_execnz .LBB2_1849
; %bb.1438:                             ;   in Loop: Header=BB2_1435 Depth=3
	ds_load_b64 v[9:10], v0
	s_waitcnt lgkmcnt(0)
	v_cmp_ge_u64_e32 vcc_lo, v[9:10], v[12:13]
	s_and_not1_b32 vcc_hi, vcc_hi, exec_lo
	s_or_not1_b32 vcc_lo, vcc_lo, exec_lo
	s_branch .LBB2_1434
.LBB2_1439:                             ;   in Loop: Header=BB2_1435 Depth=3
	s_cbranch_execnz .LBB2_1869
; %bb.1440:                             ;   in Loop: Header=BB2_1435 Depth=3
	ds_load_b64 v[9:10], v0
	s_and_not1_b32 s31, s31, exec_lo
	s_mov_b32 s30, 0
	s_mov_b32 s34, -1
	s_waitcnt lgkmcnt(0)
	s_waitcnt_vscnt null, 0x0
	flat_load_b32 v2, v[9:10] glc
	s_waitcnt vmcnt(0) lgkmcnt(0)
	buffer_gl1_inv
	buffer_gl0_inv
	v_cmp_eq_u32_e32 vcc_lo, 0, v2
	s_and_b32 vcc_lo, vcc_lo, exec_lo
	s_delay_alu instid0(SALU_CYCLE_1)
	s_or_b32 s31, s31, vcc_lo
	s_branch .LBB2_1436
.LBB2_1441:                             ;   in Loop: Header=BB2_1375 Depth=2
	s_or_b32 exec_lo, exec_lo, s21
	s_and_saveexec_b32 s21, s26
	s_delay_alu instid0(SALU_CYCLE_1)
	s_xor_b32 s21, exec_lo, s21
	s_cbranch_execz .LBB2_1443
; %bb.1442:                             ;   in Loop: Header=BB2_1375 Depth=2
	ds_store_b32 v0, v129
	s_cbranch_execnz .LBB2_1973
.LBB2_1443:                             ;   in Loop: Header=BB2_1375 Depth=2
	s_or_b32 exec_lo, exec_lo, s17
	;;#ASMSTART
	s_wakeup
	;;#ASMEND
.LBB2_1444:                             ;   in Loop: Header=BB2_1375 Depth=2
	s_or_b32 exec_lo, exec_lo, s13
.LBB2_1445:                             ;   in Loop: Header=BB2_1375 Depth=2
	s_and_not1_saveexec_b32 s11, s11
	s_cbranch_execz .LBB2_1447
; %bb.1446:                             ;   in Loop: Header=BB2_1375 Depth=2
	;;#ASMSTART
	s_waitcnt lgkmcnt(0) vmcnt(0)
	;;#ASMEND
	s_waitcnt lgkmcnt(0)
	s_waitcnt_vscnt null, 0x0
	s_barrier
.LBB2_1447:                             ;   in Loop: Header=BB2_1375 Depth=2
	s_or_b32 exec_lo, exec_lo, s11
.LBB2_1448:                             ;   in Loop: Header=BB2_1375 Depth=2
	s_delay_alu instid0(SALU_CYCLE_1) | instskip(SKIP_2) | instid1(VALU_DEP_1)
	s_or_b32 exec_lo, exec_lo, s5
	v_and_b32_e32 v2, 32, v30
	s_mov_b32 s5, exec_lo
	v_cmpx_ne_u32_e32 0, v2
	s_cbranch_execz .LBB2_1450
; %bb.1449:                             ;   in Loop: Header=BB2_1375 Depth=2
	v_add_co_u32 v22, vcc_lo, v22, 2
	v_add_co_ci_u32_e32 v23, vcc_lo, 0, v23, vcc_lo
	s_waitcnt lgkmcnt(0)
	s_waitcnt_vscnt null, 0x0
	flat_store_b64 v[20:21], v[22:23]
.LBB2_1450:                             ;   in Loop: Header=BB2_1375 Depth=2
	s_or_b32 exec_lo, exec_lo, s5
	v_add_nc_u32_e32 v8, v53, v8
	s_mov_b32 s5, 0
	s_and_not1_b32 exec_lo, exec_lo, s15
	s_cbranch_execnz .LBB2_1375
; %bb.1451:                             ;   in Loop: Header=BB2_55 Depth=1
	s_or_b32 exec_lo, exec_lo, s15
.LBB2_1452:                             ;   in Loop: Header=BB2_55 Depth=1
	s_delay_alu instid0(SALU_CYCLE_1)
	s_or_b32 exec_lo, exec_lo, s14
	v_add_co_u32 v36, vcc_lo, v36, v32
	v_add_co_ci_u32_e32 v37, vcc_lo, v37, v33, vcc_lo
	s_mov_b32 s13, s18
	s_mov_b32 s14, s22
	s_mov_b32 s22, s13
	s_delay_alu instid0(VALU_DEP_1)
	v_cmp_ge_i64_e32 vcc_lo, v[36:37], v[4:5]
	s_mov_b32 s21, s12
	v_readlane_b32 s12, v42, 5
	v_readlane_b32 s36, v42, 20
	;; [unrolled: 1-line block ×8, first 2 shown]
	s_or_b32 s36, vcc_lo, s36
	s_mov_b32 s18, s20
	s_mov_b32 s17, s13
	;; [unrolled: 1-line block ×4, first 2 shown]
	v_readlane_b32 s13, v42, 3
	v_readlane_b32 s5, v42, 4
	s_and_not1_b32 exec_lo, exec_lo, s36
	s_cbranch_execnz .LBB2_55
; %bb.1453:
	s_or_b32 exec_lo, exec_lo, s36
	v_readlane_b32 s2, v42, 0
.LBB2_1454:
	s_delay_alu instid0(VALU_DEP_1) | instskip(SKIP_2) | instid1(VALU_DEP_1)
	s_or_b32 exec_lo, exec_lo, s2
	v_and_b32_e32 v0, 0x800, v30
	s_mov_b32 s0, exec_lo
	v_cmpx_eq_u32_e32 0, v0
	s_cbranch_execz .LBB2_1705
; %bb.1455:
	v_and_b32_e32 v0, 48, v30
	s_mov_b32 s1, exec_lo
	s_delay_alu instid0(VALU_DEP_1)
	v_cmpx_ne_u32_e32 0, v0
	s_cbranch_execz .LBB2_1457
; %bb.1456:
	flat_store_b64 v[18:19], v[22:23] offset:104
.LBB2_1457:
	s_or_b32 exec_lo, exec_lo, s1
	v_and_b32_e32 v0, 0x88, v30
	s_mov_b32 s1, exec_lo
	s_delay_alu instid0(VALU_DEP_1)
	v_cmpx_eq_u32_e32 0x88, v0
	s_cbranch_execz .LBB2_1503
; %bb.1458:
	v_add_nc_u32_e32 v0, 6, v22
	s_mov_b32 s2, 0
                                        ; implicit-def: $sgpr3
	s_delay_alu instid0(VALU_DEP_1) | instskip(NEXT) | instid1(VALU_DEP_1)
	v_and_b32_e32 v0, 7, v0
	v_mad_u64_u32 v[2:3], null, v0, 24, v[6:7]
	v_mov_b32_e32 v0, 0
	s_delay_alu instid0(VALU_DEP_2) | instskip(NEXT) | instid1(VALU_DEP_3)
	v_add_co_u32 v2, vcc_lo, v2, 8
	v_add_co_ci_u32_e32 v3, vcc_lo, 0, v3, vcc_lo
	s_branch .LBB2_1489
.LBB2_1459:
	s_trap 2
	s_sendmsg_rtn_b32 s0, sendmsg(MSG_RTN_GET_DOORBELL)
	s_mov_b32 ttmp2, m0
	s_waitcnt lgkmcnt(0)
	s_and_b32 s0, s0, 0x3ff
	s_delay_alu instid0(SALU_CYCLE_1) | instskip(NEXT) | instid1(SALU_CYCLE_1)
	s_bitset1_b32 s0, 10
	s_mov_b32 m0, s0
	s_sendmsg sendmsg(MSG_INTERRUPT)
	s_mov_b32 m0, ttmp2
.LBB2_1460:                             ; =>This Inner Loop Header: Depth=1
	s_sethalt 5
	s_branch .LBB2_1460
.LBB2_1461:
	s_and_not1_saveexec_b32 s0, s0
	s_cbranch_execz .LBB2_7
.LBB2_1462:
	s_clause 0x1
	flat_load_b64 v[6:7], v[2:3] offset:96
	flat_load_b64 v[4:5], v[2:3] offset:72
	v_mov_b32_e32 v14, 0
	v_mov_b32_e32 v15, 0
	s_waitcnt vmcnt(1) lgkmcnt(1)
	v_lshlrev_b64 v[32:33], 6, v[6:7]
	s_or_b32 exec_lo, exec_lo, s0
	s_cbranch_execz .LBB2_8
.LBB2_1463:
	s_trap 2
	s_sendmsg_rtn_b32 s0, sendmsg(MSG_RTN_GET_DOORBELL)
	s_mov_b32 ttmp2, m0
	s_waitcnt lgkmcnt(0)
	s_and_b32 s0, s0, 0x3ff
	s_delay_alu instid0(SALU_CYCLE_1) | instskip(NEXT) | instid1(SALU_CYCLE_1)
	s_bitset1_b32 s0, 10
	s_mov_b32 m0, s0
	s_sendmsg sendmsg(MSG_INTERRUPT)
	s_mov_b32 m0, ttmp2
.LBB2_1464:                             ; =>This Inner Loop Header: Depth=1
	s_sethalt 5
	s_branch .LBB2_1464
.LBB2_1465:
	s_trap 2
	s_sendmsg_rtn_b32 s0, sendmsg(MSG_RTN_GET_DOORBELL)
	s_mov_b32 ttmp2, m0
	s_waitcnt lgkmcnt(0)
	s_and_b32 s0, s0, 0x3ff
	s_delay_alu instid0(SALU_CYCLE_1) | instskip(NEXT) | instid1(SALU_CYCLE_1)
	s_bitset1_b32 s0, 10
	s_mov_b32 m0, s0
	s_sendmsg sendmsg(MSG_INTERRUPT)
	s_mov_b32 m0, ttmp2
.LBB2_1466:                             ; =>This Inner Loop Header: Depth=1
	s_sethalt 5
	s_branch .LBB2_1466
.LBB2_1467:
	s_trap 2
	s_sendmsg_rtn_b32 s0, sendmsg(MSG_RTN_GET_DOORBELL)
	s_mov_b32 ttmp2, m0
	s_waitcnt lgkmcnt(0)
	s_and_b32 s0, s0, 0x3ff
	s_delay_alu instid0(SALU_CYCLE_1) | instskip(NEXT) | instid1(SALU_CYCLE_1)
	s_bitset1_b32 s0, 10
	s_mov_b32 m0, s0
	s_sendmsg sendmsg(MSG_INTERRUPT)
	s_mov_b32 m0, ttmp2
.LBB2_1468:                             ; =>This Inner Loop Header: Depth=1
	s_sethalt 5
	s_branch .LBB2_1468
.LBB2_1469:
	s_trap 2
	s_sendmsg_rtn_b32 s0, sendmsg(MSG_RTN_GET_DOORBELL)
	s_mov_b32 ttmp2, m0
	s_waitcnt lgkmcnt(0)
	s_and_b32 s0, s0, 0x3ff
	s_delay_alu instid0(SALU_CYCLE_1) | instskip(NEXT) | instid1(SALU_CYCLE_1)
	s_bitset1_b32 s0, 10
	s_mov_b32 m0, s0
	s_sendmsg sendmsg(MSG_INTERRUPT)
	s_mov_b32 m0, ttmp2
.LBB2_1470:                             ; =>This Inner Loop Header: Depth=1
	s_sethalt 5
	s_branch .LBB2_1470
.LBB2_1471:
	s_trap 2
	s_sendmsg_rtn_b32 s0, sendmsg(MSG_RTN_GET_DOORBELL)
	s_mov_b32 ttmp2, m0
	s_waitcnt lgkmcnt(0)
	s_and_b32 s0, s0, 0x3ff
	s_delay_alu instid0(SALU_CYCLE_1) | instskip(NEXT) | instid1(SALU_CYCLE_1)
	s_bitset1_b32 s0, 10
	s_mov_b32 m0, s0
	s_sendmsg sendmsg(MSG_INTERRUPT)
	s_mov_b32 m0, ttmp2
.LBB2_1472:                             ; =>This Inner Loop Header: Depth=1
	s_sethalt 5
	s_branch .LBB2_1472
.LBB2_1473:
	s_trap 2
	s_sendmsg_rtn_b32 s0, sendmsg(MSG_RTN_GET_DOORBELL)
	s_mov_b32 ttmp2, m0
	s_waitcnt lgkmcnt(0)
	s_and_b32 s0, s0, 0x3ff
	s_delay_alu instid0(SALU_CYCLE_1) | instskip(NEXT) | instid1(SALU_CYCLE_1)
	s_bitset1_b32 s0, 10
	s_mov_b32 m0, s0
	s_sendmsg sendmsg(MSG_INTERRUPT)
	s_mov_b32 m0, ttmp2
.LBB2_1474:                             ; =>This Inner Loop Header: Depth=1
	s_sethalt 5
	s_branch .LBB2_1474
.LBB2_1475:
	s_trap 2
	s_sendmsg_rtn_b32 s0, sendmsg(MSG_RTN_GET_DOORBELL)
	s_mov_b32 ttmp2, m0
	s_waitcnt lgkmcnt(0)
	s_and_b32 s0, s0, 0x3ff
	s_delay_alu instid0(SALU_CYCLE_1) | instskip(NEXT) | instid1(SALU_CYCLE_1)
	s_bitset1_b32 s0, 10
	s_mov_b32 m0, s0
	s_sendmsg sendmsg(MSG_INTERRUPT)
	s_mov_b32 m0, ttmp2
.LBB2_1476:                             ; =>This Inner Loop Header: Depth=1
	s_sethalt 5
	s_branch .LBB2_1476
.LBB2_1477:
	s_trap 2
	s_sendmsg_rtn_b32 s0, sendmsg(MSG_RTN_GET_DOORBELL)
	s_mov_b32 ttmp2, m0
	s_waitcnt lgkmcnt(0)
	s_and_b32 s0, s0, 0x3ff
	s_delay_alu instid0(SALU_CYCLE_1) | instskip(NEXT) | instid1(SALU_CYCLE_1)
	s_bitset1_b32 s0, 10
	s_mov_b32 m0, s0
	s_sendmsg sendmsg(MSG_INTERRUPT)
	s_mov_b32 m0, ttmp2
.LBB2_1478:                             ; =>This Inner Loop Header: Depth=1
	s_sethalt 5
	s_branch .LBB2_1478
.LBB2_1479:
	s_trap 2
	s_sendmsg_rtn_b32 s0, sendmsg(MSG_RTN_GET_DOORBELL)
	s_mov_b32 ttmp2, m0
	s_waitcnt lgkmcnt(0)
	s_and_b32 s0, s0, 0x3ff
	s_delay_alu instid0(SALU_CYCLE_1) | instskip(NEXT) | instid1(SALU_CYCLE_1)
	s_bitset1_b32 s0, 10
	s_mov_b32 m0, s0
	s_sendmsg sendmsg(MSG_INTERRUPT)
	s_mov_b32 m0, ttmp2
.LBB2_1480:                             ; =>This Inner Loop Header: Depth=1
	s_sethalt 5
	s_branch .LBB2_1480
.LBB2_1481:
	s_trap 2
	s_sendmsg_rtn_b32 s0, sendmsg(MSG_RTN_GET_DOORBELL)
	s_mov_b32 ttmp2, m0
	s_waitcnt lgkmcnt(0)
	s_and_b32 s0, s0, 0x3ff
	s_delay_alu instid0(SALU_CYCLE_1) | instskip(NEXT) | instid1(SALU_CYCLE_1)
	s_bitset1_b32 s0, 10
	s_mov_b32 m0, s0
	s_sendmsg sendmsg(MSG_INTERRUPT)
	s_mov_b32 m0, ttmp2
.LBB2_1482:                             ; =>This Inner Loop Header: Depth=1
	s_sethalt 5
	s_branch .LBB2_1482
.LBB2_1483:
	s_trap 2
	s_sendmsg_rtn_b32 s0, sendmsg(MSG_RTN_GET_DOORBELL)
	s_mov_b32 ttmp2, m0
	s_waitcnt lgkmcnt(0)
	s_and_b32 s0, s0, 0x3ff
	s_delay_alu instid0(SALU_CYCLE_1) | instskip(NEXT) | instid1(SALU_CYCLE_1)
	s_bitset1_b32 s0, 10
	s_mov_b32 m0, s0
	s_sendmsg sendmsg(MSG_INTERRUPT)
	s_mov_b32 m0, ttmp2
.LBB2_1484:                             ; =>This Inner Loop Header: Depth=1
	s_sethalt 5
	s_branch .LBB2_1484
.LBB2_1485:                             ;   in Loop: Header=BB2_1489 Depth=1
	s_or_b32 exec_lo, exec_lo, s10
	v_mov_b32_e32 v4, 0
	s_or_not1_b32 s7, s7, exec_lo
.LBB2_1486:                             ;   in Loop: Header=BB2_1489 Depth=1
	s_or_b32 exec_lo, exec_lo, s6
	s_delay_alu instid0(VALU_DEP_1)
	v_mov_b32_e32 v0, v4
	s_and_b32 s6, s7, exec_lo
.LBB2_1487:                             ;   in Loop: Header=BB2_1489 Depth=1
	s_or_b32 exec_lo, exec_lo, s5
	s_xor_b32 s5, s6, -1
	s_and_not1_b32 s3, s3, exec_lo
	s_and_b32 s5, s5, exec_lo
	s_delay_alu instid0(SALU_CYCLE_1)
	s_or_b32 s3, s3, s5
.LBB2_1488:                             ;   in Loop: Header=BB2_1489 Depth=1
	s_or_b32 exec_lo, exec_lo, s4
	s_delay_alu instid0(SALU_CYCLE_1) | instskip(NEXT) | instid1(SALU_CYCLE_1)
	s_and_b32 s4, exec_lo, s3
	s_or_b32 s2, s4, s2
	s_delay_alu instid0(SALU_CYCLE_1)
	s_and_not1_b32 exec_lo, exec_lo, s2
	s_cbranch_execz .LBB2_1502
.LBB2_1489:                             ; =>This Inner Loop Header: Depth=1
	flat_load_b64 v[4:5], v[2:3] glc dlc
	s_waitcnt vmcnt(0)
	s_or_b32 s3, s3, exec_lo
	s_mov_b32 s4, exec_lo
	s_waitcnt lgkmcnt(0)
	v_cmpx_ne_u64_e32 -1, v[4:5]
	s_cbranch_execz .LBB2_1488
; %bb.1490:                             ;   in Loop: Header=BB2_1489 Depth=1
	v_and_b32_e32 v4, 64, v30
	s_mov_b32 s6, 0
	s_mov_b32 s5, exec_lo
	s_delay_alu instid0(VALU_DEP_1)
	v_cmpx_eq_u32_e32 0, v4
	s_cbranch_execz .LBB2_1487
; %bb.1491:                             ;   in Loop: Header=BB2_1489 Depth=1
	v_add_nc_u32_e32 v4, 1, v0
	s_mov_b32 s7, -1
	s_mov_b32 s6, exec_lo
	v_cmpx_lt_i32_e32 0x270e, v0
	s_cbranch_execz .LBB2_1486
; %bb.1492:                             ;   in Loop: Header=BB2_1489 Depth=1
	s_cbranch_execnz .LBB2_1496
; %bb.1493:                             ;   in Loop: Header=BB2_1489 Depth=1
	ds_load_b64 v[4:5], v0
	s_mov_b32 s10, exec_lo
	s_waitcnt lgkmcnt(0)
	s_waitcnt_vscnt null, 0x0
	flat_load_b32 v0, v[4:5] glc
	s_waitcnt vmcnt(0) lgkmcnt(0)
	buffer_gl1_inv
	buffer_gl0_inv
	v_cmpx_ne_u32_e32 0, v0
	s_cbranch_execz .LBB2_1485
; %bb.1494:                             ;   in Loop: Header=BB2_1489 Depth=1
	ds_store_b32 v0, v0
	s_cbranch_execnz .LBB2_1520
; %bb.1495:                             ;   in Loop: Header=BB2_1489 Depth=1
	v_or_b32_e32 v30, 64, v30
	s_xor_b32 s7, exec_lo, -1
	s_branch .LBB2_1485
.LBB2_1496:
	s_trap 2
	s_sendmsg_rtn_b32 s0, sendmsg(MSG_RTN_GET_DOORBELL)
	s_mov_b32 ttmp2, m0
	s_waitcnt lgkmcnt(0)
	s_and_b32 s0, s0, 0x3ff
	s_delay_alu instid0(SALU_CYCLE_1) | instskip(NEXT) | instid1(SALU_CYCLE_1)
	s_bitset1_b32 s0, 10
	s_mov_b32 m0, s0
	s_sendmsg sendmsg(MSG_INTERRUPT)
	s_mov_b32 m0, ttmp2
.LBB2_1497:                             ; =>This Inner Loop Header: Depth=1
	s_sethalt 5
	s_branch .LBB2_1497
.LBB2_1498:
	s_trap 2
	s_sendmsg_rtn_b32 s0, sendmsg(MSG_RTN_GET_DOORBELL)
	s_mov_b32 ttmp2, m0
	s_waitcnt lgkmcnt(0)
	s_and_b32 s0, s0, 0x3ff
	s_delay_alu instid0(SALU_CYCLE_1) | instskip(NEXT) | instid1(SALU_CYCLE_1)
	s_bitset1_b32 s0, 10
	s_mov_b32 m0, s0
	s_sendmsg sendmsg(MSG_INTERRUPT)
	s_mov_b32 m0, ttmp2
.LBB2_1499:                             ; =>This Inner Loop Header: Depth=1
	s_sethalt 5
	s_branch .LBB2_1499
.LBB2_1500:
	s_trap 2
	s_sendmsg_rtn_b32 s0, sendmsg(MSG_RTN_GET_DOORBELL)
	s_mov_b32 ttmp2, m0
	s_waitcnt lgkmcnt(0)
	s_and_b32 s0, s0, 0x3ff
	s_delay_alu instid0(SALU_CYCLE_1) | instskip(NEXT) | instid1(SALU_CYCLE_1)
	s_bitset1_b32 s0, 10
	s_mov_b32 m0, s0
	s_sendmsg sendmsg(MSG_INTERRUPT)
	s_mov_b32 m0, ttmp2
.LBB2_1501:                             ; =>This Inner Loop Header: Depth=1
	s_sethalt 5
	s_branch .LBB2_1501
.LBB2_1502:
	s_or_b32 exec_lo, exec_lo, s2
.LBB2_1503:
	s_delay_alu instid0(SALU_CYCLE_1) | instskip(SKIP_2) | instid1(VALU_DEP_1)
	s_or_b32 exec_lo, exec_lo, s1
	v_and_b32_e32 v0, 0x2000, v30
	s_mov_b32 s1, exec_lo
	v_cmpx_ne_u32_e32 0, v0
	s_cbranch_execz .LBB2_1506
; %bb.1504:
	s_cbranch_execnz .LBB2_1514
; %bb.1505:
	ds_load_b64 v[2:3], v0
	s_waitcnt lgkmcnt(0)
	flat_store_b64 v[16:17], v[2:3] offset:16
.LBB2_1506:
	s_or_b32 exec_lo, exec_lo, s1
	v_cmp_ne_u32_e32 vcc_lo, 32, v1
	s_and_b32 exec_lo, exec_lo, vcc_lo
	s_cbranch_execz .LBB2_1705
; %bb.1507:
	s_mov_b32 s1, exec_lo
	v_cmpx_ne_u32_e64 v71, v1
	s_xor_b32 s1, exec_lo, s1
	s_cbranch_execz .LBB2_1703
; %bb.1508:
	v_and_b32_e32 v0, 31, v31
	s_mov_b32 s2, exec_lo
	s_delay_alu instid0(VALU_DEP_1)
	v_cmpx_eq_u32_e32 0, v0
	s_cbranch_execz .LBB2_1702
; %bb.1509:
	s_mov_b32 s4, exec_lo
	s_mov_b32 s3, exec_lo
	v_mbcnt_lo_u32_b32 v0, s4, 0
	s_waitcnt lgkmcnt(0)
	s_waitcnt_vscnt null, 0x0
	buffer_gl1_inv
	buffer_gl0_inv
	v_cmpx_eq_u32_e32 0, v0
	s_cbranch_execz .LBB2_1511
; %bb.1510:
	s_bcnt1_i32_b32 s4, s4
	s_delay_alu instid0(SALU_CYCLE_1)
	v_dual_mov_b32 v3, 0 :: v_dual_mov_b32 v2, s4
	ds_add_u64 v0, v[2:3]
	s_cbranch_execnz .LBB2_1549
.LBB2_1511:
	s_or_b32 exec_lo, exec_lo, s3
	s_cbranch_execnz .LBB2_1528
; %bb.1512:
	v_ashrrev_i32_e32 v0, 31, v1
	s_mov_b32 s3, exec_lo
	s_delay_alu instid0(VALU_DEP_1) | instskip(NEXT) | instid1(VALU_DEP_1)
	v_lshrrev_b32_e32 v0, 27, v0
	v_add_nc_u32_e32 v0, v1, v0
	ds_load_b64 v[2:3], v0
	v_ashrrev_i32_e32 v0, 5, v0
	s_delay_alu instid0(VALU_DEP_1) | instskip(SKIP_1) | instid1(VALU_DEP_2)
	v_ashrrev_i32_e32 v1, 31, v0
	v_add_co_u32 v0, vcc_lo, v12, v0
	v_add_co_ci_u32_e32 v1, vcc_lo, v13, v1, vcc_lo
	s_waitcnt lgkmcnt(0)
	s_delay_alu instid0(VALU_DEP_1)
	v_cmpx_lt_u64_e64 v[2:3], v[0:1]
	s_cbranch_execz .LBB2_1701
; %bb.1513:
	s_mov_b32 s4, 0
	s_mov_b32 s7, 0
                                        ; implicit-def: $sgpr5
                                        ; implicit-def: $sgpr6
	s_branch .LBB2_1535
.LBB2_1514:
	s_trap 2
	s_sendmsg_rtn_b32 s0, sendmsg(MSG_RTN_GET_DOORBELL)
	s_mov_b32 ttmp2, m0
	s_waitcnt lgkmcnt(0)
	s_and_b32 s0, s0, 0x3ff
	s_delay_alu instid0(SALU_CYCLE_1) | instskip(NEXT) | instid1(SALU_CYCLE_1)
	s_bitset1_b32 s0, 10
	s_mov_b32 m0, s0
	s_sendmsg sendmsg(MSG_INTERRUPT)
	s_mov_b32 m0, ttmp2
.LBB2_1515:                             ; =>This Inner Loop Header: Depth=1
	s_sethalt 5
	s_branch .LBB2_1515
.LBB2_1516:
	s_trap 2
	s_sendmsg_rtn_b32 s0, sendmsg(MSG_RTN_GET_DOORBELL)
	s_mov_b32 ttmp2, m0
	s_waitcnt lgkmcnt(0)
	s_and_b32 s0, s0, 0x3ff
	s_delay_alu instid0(SALU_CYCLE_1) | instskip(NEXT) | instid1(SALU_CYCLE_1)
	s_bitset1_b32 s0, 10
	s_mov_b32 m0, s0
	s_sendmsg sendmsg(MSG_INTERRUPT)
	s_mov_b32 m0, ttmp2
.LBB2_1517:                             ; =>This Inner Loop Header: Depth=1
	s_sethalt 5
	s_branch .LBB2_1517
.LBB2_1518:
	s_trap 2
	s_sendmsg_rtn_b32 s0, sendmsg(MSG_RTN_GET_DOORBELL)
	s_mov_b32 ttmp2, m0
	s_waitcnt lgkmcnt(0)
	s_and_b32 s0, s0, 0x3ff
	s_delay_alu instid0(SALU_CYCLE_1) | instskip(NEXT) | instid1(SALU_CYCLE_1)
	s_bitset1_b32 s0, 10
	s_mov_b32 m0, s0
	s_sendmsg sendmsg(MSG_INTERRUPT)
	s_mov_b32 m0, ttmp2
.LBB2_1519:                             ; =>This Inner Loop Header: Depth=1
	s_sethalt 5
	s_branch .LBB2_1519
.LBB2_1520:
	s_trap 2
	s_sendmsg_rtn_b32 s0, sendmsg(MSG_RTN_GET_DOORBELL)
	s_mov_b32 ttmp2, m0
	s_waitcnt lgkmcnt(0)
	s_and_b32 s0, s0, 0x3ff
	s_delay_alu instid0(SALU_CYCLE_1) | instskip(NEXT) | instid1(SALU_CYCLE_1)
	s_bitset1_b32 s0, 10
	s_mov_b32 m0, s0
	s_sendmsg sendmsg(MSG_INTERRUPT)
	s_mov_b32 m0, ttmp2
.LBB2_1521:                             ; =>This Inner Loop Header: Depth=1
	s_sethalt 5
	s_branch .LBB2_1521
.LBB2_1522:
	s_trap 2
	s_sendmsg_rtn_b32 s0, sendmsg(MSG_RTN_GET_DOORBELL)
	s_mov_b32 ttmp2, m0
	s_waitcnt lgkmcnt(0)
	s_and_b32 s0, s0, 0x3ff
	s_delay_alu instid0(SALU_CYCLE_1) | instskip(NEXT) | instid1(SALU_CYCLE_1)
	s_bitset1_b32 s0, 10
	s_mov_b32 m0, s0
	s_sendmsg sendmsg(MSG_INTERRUPT)
	s_mov_b32 m0, ttmp2
.LBB2_1523:                             ; =>This Inner Loop Header: Depth=1
	s_sethalt 5
	s_branch .LBB2_1523
.LBB2_1524:
	s_trap 2
	s_sendmsg_rtn_b32 s0, sendmsg(MSG_RTN_GET_DOORBELL)
	s_mov_b32 ttmp2, m0
	s_waitcnt lgkmcnt(0)
	s_and_b32 s0, s0, 0x3ff
	s_delay_alu instid0(SALU_CYCLE_1) | instskip(NEXT) | instid1(SALU_CYCLE_1)
	s_bitset1_b32 s0, 10
	s_mov_b32 m0, s0
	s_sendmsg sendmsg(MSG_INTERRUPT)
	s_mov_b32 m0, ttmp2
.LBB2_1525:                             ; =>This Inner Loop Header: Depth=1
	s_sethalt 5
	s_branch .LBB2_1525
.LBB2_1526:
	s_trap 2
	s_sendmsg_rtn_b32 s0, sendmsg(MSG_RTN_GET_DOORBELL)
	s_mov_b32 ttmp2, m0
	s_waitcnt lgkmcnt(0)
	s_and_b32 s0, s0, 0x3ff
	s_delay_alu instid0(SALU_CYCLE_1) | instskip(NEXT) | instid1(SALU_CYCLE_1)
	s_bitset1_b32 s0, 10
	s_mov_b32 m0, s0
	s_sendmsg sendmsg(MSG_INTERRUPT)
	s_mov_b32 m0, ttmp2
.LBB2_1527:                             ; =>This Inner Loop Header: Depth=1
	s_sethalt 5
	s_branch .LBB2_1527
.LBB2_1528:
	s_trap 2
	s_sendmsg_rtn_b32 s0, sendmsg(MSG_RTN_GET_DOORBELL)
	s_mov_b32 ttmp2, m0
	s_waitcnt lgkmcnt(0)
	s_and_b32 s0, s0, 0x3ff
	s_delay_alu instid0(SALU_CYCLE_1) | instskip(NEXT) | instid1(SALU_CYCLE_1)
	s_bitset1_b32 s0, 10
	s_mov_b32 m0, s0
	s_sendmsg sendmsg(MSG_INTERRUPT)
	s_mov_b32 m0, ttmp2
.LBB2_1529:                             ; =>This Inner Loop Header: Depth=1
	s_sethalt 5
	s_branch .LBB2_1529
.LBB2_1530:
	s_trap 2
	s_sendmsg_rtn_b32 s0, sendmsg(MSG_RTN_GET_DOORBELL)
	s_mov_b32 ttmp2, m0
	s_waitcnt lgkmcnt(0)
	s_and_b32 s0, s0, 0x3ff
	s_delay_alu instid0(SALU_CYCLE_1) | instskip(NEXT) | instid1(SALU_CYCLE_1)
	s_bitset1_b32 s0, 10
	s_mov_b32 m0, s0
	s_sendmsg sendmsg(MSG_INTERRUPT)
	s_mov_b32 m0, ttmp2
.LBB2_1531:                             ; =>This Inner Loop Header: Depth=1
	s_sethalt 5
	s_branch .LBB2_1531
.LBB2_1532:
	s_trap 2
	s_sendmsg_rtn_b32 s0, sendmsg(MSG_RTN_GET_DOORBELL)
	s_mov_b32 ttmp2, m0
	s_waitcnt lgkmcnt(0)
	s_and_b32 s0, s0, 0x3ff
	s_delay_alu instid0(SALU_CYCLE_1) | instskip(NEXT) | instid1(SALU_CYCLE_1)
	s_bitset1_b32 s0, 10
	s_mov_b32 m0, s0
	s_sendmsg sendmsg(MSG_INTERRUPT)
	s_mov_b32 m0, ttmp2
.LBB2_1533:                             ; =>This Inner Loop Header: Depth=1
	s_sethalt 5
	s_branch .LBB2_1533
.LBB2_1534:                             ;   in Loop: Header=BB2_1535 Depth=1
	s_or_b32 exec_lo, exec_lo, s12
	s_delay_alu instid0(SALU_CYCLE_1) | instskip(NEXT) | instid1(SALU_CYCLE_1)
	s_and_b32 s10, exec_lo, s11
	s_or_b32 s4, s10, s4
	s_and_not1_b32 s5, s5, exec_lo
	s_and_b32 s10, s6, exec_lo
	s_delay_alu instid0(SALU_CYCLE_1)
	s_or_b32 s5, s5, s10
	s_and_not1_b32 exec_lo, exec_lo, s4
	s_cbranch_execz .LBB2_1699
.LBB2_1535:                             ; =>This Inner Loop Header: Depth=1
	s_add_i32 s7, s7, 1
                                        ; implicit-def: $sgpr11
	s_delay_alu instid0(SALU_CYCLE_1) | instskip(SKIP_1) | instid1(SALU_CYCLE_1)
	s_cmpk_lg_i32 s7, 0x2710
	s_cselect_b32 s10, -1, 0
	s_and_b32 vcc_lo, exec_lo, s10
	s_cbranch_vccz .LBB2_1539
.LBB2_1536:                             ;   in Loop: Header=BB2_1535 Depth=1
	s_and_not1_b32 s6, s6, exec_lo
	s_and_b32 s12, s11, exec_lo
	s_mov_b32 s11, -1
	s_or_b32 s6, s6, s12
	s_and_saveexec_b32 s12, s10
	s_cbranch_execz .LBB2_1534
; %bb.1537:                             ;   in Loop: Header=BB2_1535 Depth=1
	s_sleep 1
	s_cbranch_execnz .LBB2_1587
; %bb.1538:                             ;   in Loop: Header=BB2_1535 Depth=1
	ds_load_b64 v[2:3], v0
	s_and_not1_b32 s6, s6, exec_lo
	s_waitcnt lgkmcnt(0)
	v_cmp_ge_u64_e32 vcc_lo, v[2:3], v[0:1]
	s_or_not1_b32 s11, vcc_lo, exec_lo
	s_branch .LBB2_1534
.LBB2_1539:                             ;   in Loop: Header=BB2_1535 Depth=1
	s_cbranch_execnz .LBB2_1589
; %bb.1540:                             ;   in Loop: Header=BB2_1535 Depth=1
	ds_load_b64 v[2:3], v0
	s_and_not1_b32 s10, s10, exec_lo
	s_mov_b32 s7, 0
	s_mov_b32 s11, -1
	s_waitcnt lgkmcnt(0)
	flat_load_b32 v2, v[2:3] glc
	s_waitcnt vmcnt(0) lgkmcnt(0)
	buffer_gl1_inv
	buffer_gl0_inv
	v_cmp_eq_u32_e32 vcc_lo, 0, v2
	s_and_b32 s12, vcc_lo, exec_lo
	s_delay_alu instid0(SALU_CYCLE_1)
	s_or_b32 s10, s10, s12
	s_branch .LBB2_1536
.LBB2_1541:
	s_trap 2
	s_sendmsg_rtn_b32 s0, sendmsg(MSG_RTN_GET_DOORBELL)
	s_mov_b32 ttmp2, m0
	s_waitcnt lgkmcnt(0)
	s_and_b32 s0, s0, 0x3ff
	s_delay_alu instid0(SALU_CYCLE_1) | instskip(NEXT) | instid1(SALU_CYCLE_1)
	s_bitset1_b32 s0, 10
	s_mov_b32 m0, s0
	s_sendmsg sendmsg(MSG_INTERRUPT)
	s_mov_b32 m0, ttmp2
.LBB2_1542:                             ; =>This Inner Loop Header: Depth=1
	s_sethalt 5
	s_branch .LBB2_1542
.LBB2_1543:
	s_trap 2
	s_sendmsg_rtn_b32 s0, sendmsg(MSG_RTN_GET_DOORBELL)
	s_mov_b32 ttmp2, m0
	s_waitcnt lgkmcnt(0)
	s_and_b32 s0, s0, 0x3ff
	s_delay_alu instid0(SALU_CYCLE_1) | instskip(NEXT) | instid1(SALU_CYCLE_1)
	s_bitset1_b32 s0, 10
	s_mov_b32 m0, s0
	s_sendmsg sendmsg(MSG_INTERRUPT)
	s_mov_b32 m0, ttmp2
.LBB2_1544:                             ; =>This Inner Loop Header: Depth=1
	s_sethalt 5
	s_branch .LBB2_1544
.LBB2_1545:
	s_trap 2
	s_sendmsg_rtn_b32 s0, sendmsg(MSG_RTN_GET_DOORBELL)
	s_mov_b32 ttmp2, m0
	s_waitcnt lgkmcnt(0)
	s_and_b32 s0, s0, 0x3ff
	s_delay_alu instid0(SALU_CYCLE_1) | instskip(NEXT) | instid1(SALU_CYCLE_1)
	s_bitset1_b32 s0, 10
	s_mov_b32 m0, s0
	s_sendmsg sendmsg(MSG_INTERRUPT)
	s_mov_b32 m0, ttmp2
.LBB2_1546:                             ; =>This Inner Loop Header: Depth=1
	s_sethalt 5
	s_branch .LBB2_1546
.LBB2_1547:
	s_trap 2
	s_sendmsg_rtn_b32 s0, sendmsg(MSG_RTN_GET_DOORBELL)
	s_mov_b32 ttmp2, m0
	s_waitcnt lgkmcnt(0)
	s_and_b32 s0, s0, 0x3ff
	s_delay_alu instid0(SALU_CYCLE_1) | instskip(NEXT) | instid1(SALU_CYCLE_1)
	s_bitset1_b32 s0, 10
	s_mov_b32 m0, s0
	s_sendmsg sendmsg(MSG_INTERRUPT)
	s_mov_b32 m0, ttmp2
.LBB2_1548:                             ; =>This Inner Loop Header: Depth=1
	s_sethalt 5
	s_branch .LBB2_1548
.LBB2_1549:
	s_trap 2
	s_sendmsg_rtn_b32 s0, sendmsg(MSG_RTN_GET_DOORBELL)
	s_mov_b32 ttmp2, m0
	s_waitcnt lgkmcnt(0)
	s_and_b32 s0, s0, 0x3ff
	s_delay_alu instid0(SALU_CYCLE_1) | instskip(NEXT) | instid1(SALU_CYCLE_1)
	s_bitset1_b32 s0, 10
	s_mov_b32 m0, s0
	s_sendmsg sendmsg(MSG_INTERRUPT)
	s_mov_b32 m0, ttmp2
.LBB2_1550:                             ; =>This Inner Loop Header: Depth=1
	s_sethalt 5
	s_branch .LBB2_1550
.LBB2_1551:
	s_trap 2
	s_sendmsg_rtn_b32 s0, sendmsg(MSG_RTN_GET_DOORBELL)
	s_mov_b32 ttmp2, m0
	s_waitcnt lgkmcnt(0)
	s_and_b32 s0, s0, 0x3ff
	s_delay_alu instid0(SALU_CYCLE_1) | instskip(NEXT) | instid1(SALU_CYCLE_1)
	s_bitset1_b32 s0, 10
	s_mov_b32 m0, s0
	s_sendmsg sendmsg(MSG_INTERRUPT)
	s_mov_b32 m0, ttmp2
.LBB2_1552:                             ; =>This Inner Loop Header: Depth=1
	s_sethalt 5
	s_branch .LBB2_1552
.LBB2_1553:
	s_trap 2
	s_sendmsg_rtn_b32 s0, sendmsg(MSG_RTN_GET_DOORBELL)
	s_mov_b32 ttmp2, m0
	s_waitcnt lgkmcnt(0)
	s_and_b32 s0, s0, 0x3ff
	s_delay_alu instid0(SALU_CYCLE_1) | instskip(NEXT) | instid1(SALU_CYCLE_1)
	s_bitset1_b32 s0, 10
	s_mov_b32 m0, s0
	s_sendmsg sendmsg(MSG_INTERRUPT)
	s_mov_b32 m0, ttmp2
.LBB2_1554:                             ; =>This Inner Loop Header: Depth=1
	s_sethalt 5
	s_branch .LBB2_1554
.LBB2_1555:
	s_trap 2
	s_sendmsg_rtn_b32 s0, sendmsg(MSG_RTN_GET_DOORBELL)
	s_mov_b32 ttmp2, m0
	s_waitcnt lgkmcnt(0)
	s_and_b32 s0, s0, 0x3ff
	s_delay_alu instid0(SALU_CYCLE_1) | instskip(NEXT) | instid1(SALU_CYCLE_1)
	s_bitset1_b32 s0, 10
	s_mov_b32 m0, s0
	s_sendmsg sendmsg(MSG_INTERRUPT)
	s_mov_b32 m0, ttmp2
.LBB2_1556:                             ; =>This Inner Loop Header: Depth=1
	s_sethalt 5
	s_branch .LBB2_1556
.LBB2_1557:
	s_trap 2
	s_sendmsg_rtn_b32 s0, sendmsg(MSG_RTN_GET_DOORBELL)
	s_mov_b32 ttmp2, m0
	s_waitcnt lgkmcnt(0)
	s_and_b32 s0, s0, 0x3ff
	s_delay_alu instid0(SALU_CYCLE_1) | instskip(NEXT) | instid1(SALU_CYCLE_1)
	s_bitset1_b32 s0, 10
	s_mov_b32 m0, s0
	s_sendmsg sendmsg(MSG_INTERRUPT)
	s_mov_b32 m0, ttmp2
.LBB2_1558:                             ; =>This Inner Loop Header: Depth=1
	s_sethalt 5
	s_branch .LBB2_1558
.LBB2_1559:
	s_trap 2
	s_sendmsg_rtn_b32 s0, sendmsg(MSG_RTN_GET_DOORBELL)
	s_mov_b32 ttmp2, m0
	s_waitcnt lgkmcnt(0)
	s_and_b32 s0, s0, 0x3ff
	s_delay_alu instid0(SALU_CYCLE_1) | instskip(NEXT) | instid1(SALU_CYCLE_1)
	s_bitset1_b32 s0, 10
	s_mov_b32 m0, s0
	s_sendmsg sendmsg(MSG_INTERRUPT)
	s_mov_b32 m0, ttmp2
.LBB2_1560:                             ; =>This Inner Loop Header: Depth=1
	s_sethalt 5
	s_branch .LBB2_1560
.LBB2_1561:
	s_trap 2
	s_sendmsg_rtn_b32 s0, sendmsg(MSG_RTN_GET_DOORBELL)
	s_mov_b32 ttmp2, m0
	s_waitcnt lgkmcnt(0)
	s_and_b32 s0, s0, 0x3ff
	s_delay_alu instid0(SALU_CYCLE_1) | instskip(NEXT) | instid1(SALU_CYCLE_1)
	s_bitset1_b32 s0, 10
	s_mov_b32 m0, s0
	s_sendmsg sendmsg(MSG_INTERRUPT)
	s_mov_b32 m0, ttmp2
.LBB2_1562:                             ; =>This Inner Loop Header: Depth=1
	s_sethalt 5
	s_branch .LBB2_1562
.LBB2_1563:
	s_trap 2
	s_sendmsg_rtn_b32 s0, sendmsg(MSG_RTN_GET_DOORBELL)
	s_mov_b32 ttmp2, m0
	s_waitcnt lgkmcnt(0)
	s_and_b32 s0, s0, 0x3ff
	s_delay_alu instid0(SALU_CYCLE_1) | instskip(NEXT) | instid1(SALU_CYCLE_1)
	s_bitset1_b32 s0, 10
	s_mov_b32 m0, s0
	s_sendmsg sendmsg(MSG_INTERRUPT)
	s_mov_b32 m0, ttmp2
.LBB2_1564:                             ; =>This Inner Loop Header: Depth=1
	s_sethalt 5
	s_branch .LBB2_1564
.LBB2_1565:
	s_trap 2
	s_sendmsg_rtn_b32 s0, sendmsg(MSG_RTN_GET_DOORBELL)
	s_mov_b32 ttmp2, m0
	s_waitcnt lgkmcnt(0)
	s_and_b32 s0, s0, 0x3ff
	s_delay_alu instid0(SALU_CYCLE_1) | instskip(NEXT) | instid1(SALU_CYCLE_1)
	s_bitset1_b32 s0, 10
	s_mov_b32 m0, s0
	s_sendmsg sendmsg(MSG_INTERRUPT)
	s_mov_b32 m0, ttmp2
.LBB2_1566:                             ; =>This Inner Loop Header: Depth=1
	s_sethalt 5
	s_branch .LBB2_1566
.LBB2_1567:
	s_trap 2
	s_sendmsg_rtn_b32 s0, sendmsg(MSG_RTN_GET_DOORBELL)
	s_mov_b32 ttmp2, m0
	s_waitcnt lgkmcnt(0)
	s_and_b32 s0, s0, 0x3ff
	s_delay_alu instid0(SALU_CYCLE_1) | instskip(NEXT) | instid1(SALU_CYCLE_1)
	s_bitset1_b32 s0, 10
	s_mov_b32 m0, s0
	s_sendmsg sendmsg(MSG_INTERRUPT)
	s_mov_b32 m0, ttmp2
.LBB2_1568:                             ; =>This Inner Loop Header: Depth=1
	s_sethalt 5
	s_branch .LBB2_1568
.LBB2_1569:
	s_trap 2
	s_sendmsg_rtn_b32 s0, sendmsg(MSG_RTN_GET_DOORBELL)
	s_mov_b32 ttmp2, m0
	s_waitcnt lgkmcnt(0)
	s_and_b32 s0, s0, 0x3ff
	s_delay_alu instid0(SALU_CYCLE_1) | instskip(NEXT) | instid1(SALU_CYCLE_1)
	s_bitset1_b32 s0, 10
	s_mov_b32 m0, s0
	s_sendmsg sendmsg(MSG_INTERRUPT)
	s_mov_b32 m0, ttmp2
.LBB2_1570:                             ; =>This Inner Loop Header: Depth=1
	s_sethalt 5
	s_branch .LBB2_1570
.LBB2_1571:
	s_trap 2
	s_sendmsg_rtn_b32 s0, sendmsg(MSG_RTN_GET_DOORBELL)
	s_mov_b32 ttmp2, m0
	s_waitcnt lgkmcnt(0)
	s_and_b32 s0, s0, 0x3ff
	s_delay_alu instid0(SALU_CYCLE_1) | instskip(NEXT) | instid1(SALU_CYCLE_1)
	s_bitset1_b32 s0, 10
	s_mov_b32 m0, s0
	s_sendmsg sendmsg(MSG_INTERRUPT)
	s_mov_b32 m0, ttmp2
.LBB2_1572:                             ; =>This Inner Loop Header: Depth=1
	s_sethalt 5
	s_branch .LBB2_1572
.LBB2_1573:
	s_trap 2
	s_sendmsg_rtn_b32 s0, sendmsg(MSG_RTN_GET_DOORBELL)
	s_mov_b32 ttmp2, m0
	s_waitcnt lgkmcnt(0)
	s_and_b32 s0, s0, 0x3ff
	s_delay_alu instid0(SALU_CYCLE_1) | instskip(NEXT) | instid1(SALU_CYCLE_1)
	s_bitset1_b32 s0, 10
	s_mov_b32 m0, s0
	s_sendmsg sendmsg(MSG_INTERRUPT)
	s_mov_b32 m0, ttmp2
.LBB2_1574:                             ; =>This Inner Loop Header: Depth=1
	s_sethalt 5
	s_branch .LBB2_1574
.LBB2_1575:
	s_trap 2
	s_sendmsg_rtn_b32 s0, sendmsg(MSG_RTN_GET_DOORBELL)
	s_mov_b32 ttmp2, m0
	s_waitcnt lgkmcnt(0)
	s_and_b32 s0, s0, 0x3ff
	s_delay_alu instid0(SALU_CYCLE_1) | instskip(NEXT) | instid1(SALU_CYCLE_1)
	s_bitset1_b32 s0, 10
	s_mov_b32 m0, s0
	s_sendmsg sendmsg(MSG_INTERRUPT)
	s_mov_b32 m0, ttmp2
.LBB2_1576:                             ; =>This Inner Loop Header: Depth=1
	s_sethalt 5
	s_branch .LBB2_1576
.LBB2_1577:
	s_trap 2
	s_sendmsg_rtn_b32 s0, sendmsg(MSG_RTN_GET_DOORBELL)
	s_mov_b32 ttmp2, m0
	s_waitcnt lgkmcnt(0)
	s_and_b32 s0, s0, 0x3ff
	s_delay_alu instid0(SALU_CYCLE_1) | instskip(NEXT) | instid1(SALU_CYCLE_1)
	s_bitset1_b32 s0, 10
	s_mov_b32 m0, s0
	s_sendmsg sendmsg(MSG_INTERRUPT)
	s_mov_b32 m0, ttmp2
.LBB2_1578:                             ; =>This Inner Loop Header: Depth=1
	s_sethalt 5
	s_branch .LBB2_1578
.LBB2_1579:
	s_trap 2
	s_sendmsg_rtn_b32 s0, sendmsg(MSG_RTN_GET_DOORBELL)
	s_mov_b32 ttmp2, m0
	s_waitcnt lgkmcnt(0)
	s_and_b32 s0, s0, 0x3ff
	s_delay_alu instid0(SALU_CYCLE_1) | instskip(NEXT) | instid1(SALU_CYCLE_1)
	s_bitset1_b32 s0, 10
	s_mov_b32 m0, s0
	s_sendmsg sendmsg(MSG_INTERRUPT)
	s_mov_b32 m0, ttmp2
.LBB2_1580:                             ; =>This Inner Loop Header: Depth=1
	s_sethalt 5
	s_branch .LBB2_1580
.LBB2_1581:
	s_trap 2
	s_sendmsg_rtn_b32 s0, sendmsg(MSG_RTN_GET_DOORBELL)
	s_mov_b32 ttmp2, m0
	s_waitcnt lgkmcnt(0)
	s_and_b32 s0, s0, 0x3ff
	s_delay_alu instid0(SALU_CYCLE_1) | instskip(NEXT) | instid1(SALU_CYCLE_1)
	s_bitset1_b32 s0, 10
	s_mov_b32 m0, s0
	s_sendmsg sendmsg(MSG_INTERRUPT)
	s_mov_b32 m0, ttmp2
.LBB2_1582:                             ; =>This Inner Loop Header: Depth=1
	s_sethalt 5
	s_branch .LBB2_1582
.LBB2_1583:
	s_trap 2
	s_sendmsg_rtn_b32 s0, sendmsg(MSG_RTN_GET_DOORBELL)
	s_mov_b32 ttmp2, m0
	s_waitcnt lgkmcnt(0)
	s_and_b32 s0, s0, 0x3ff
	s_delay_alu instid0(SALU_CYCLE_1) | instskip(NEXT) | instid1(SALU_CYCLE_1)
	s_bitset1_b32 s0, 10
	s_mov_b32 m0, s0
	s_sendmsg sendmsg(MSG_INTERRUPT)
	s_mov_b32 m0, ttmp2
.LBB2_1584:                             ; =>This Inner Loop Header: Depth=1
	s_sethalt 5
	s_branch .LBB2_1584
.LBB2_1585:
	s_trap 2
	s_sendmsg_rtn_b32 s0, sendmsg(MSG_RTN_GET_DOORBELL)
	s_mov_b32 ttmp2, m0
	s_waitcnt lgkmcnt(0)
	s_and_b32 s0, s0, 0x3ff
	s_delay_alu instid0(SALU_CYCLE_1) | instskip(NEXT) | instid1(SALU_CYCLE_1)
	s_bitset1_b32 s0, 10
	s_mov_b32 m0, s0
	s_sendmsg sendmsg(MSG_INTERRUPT)
	s_mov_b32 m0, ttmp2
.LBB2_1586:                             ; =>This Inner Loop Header: Depth=1
	s_sethalt 5
	s_branch .LBB2_1586
.LBB2_1587:
	s_trap 2
	s_sendmsg_rtn_b32 s0, sendmsg(MSG_RTN_GET_DOORBELL)
	s_mov_b32 ttmp2, m0
	s_waitcnt lgkmcnt(0)
	s_and_b32 s0, s0, 0x3ff
	s_delay_alu instid0(SALU_CYCLE_1) | instskip(NEXT) | instid1(SALU_CYCLE_1)
	s_bitset1_b32 s0, 10
	s_mov_b32 m0, s0
	s_sendmsg sendmsg(MSG_INTERRUPT)
	s_mov_b32 m0, ttmp2
.LBB2_1588:                             ; =>This Inner Loop Header: Depth=1
	s_sethalt 5
	s_branch .LBB2_1588
.LBB2_1589:
	s_trap 2
	s_sendmsg_rtn_b32 s0, sendmsg(MSG_RTN_GET_DOORBELL)
	s_mov_b32 ttmp2, m0
	s_waitcnt lgkmcnt(0)
	s_and_b32 s0, s0, 0x3ff
	s_delay_alu instid0(SALU_CYCLE_1) | instskip(NEXT) | instid1(SALU_CYCLE_1)
	s_bitset1_b32 s0, 10
	s_mov_b32 m0, s0
	s_sendmsg sendmsg(MSG_INTERRUPT)
	s_mov_b32 m0, ttmp2
.LBB2_1590:                             ; =>This Inner Loop Header: Depth=1
	s_sethalt 5
	s_branch .LBB2_1590
.LBB2_1591:
	s_trap 2
	s_sendmsg_rtn_b32 s0, sendmsg(MSG_RTN_GET_DOORBELL)
	s_mov_b32 ttmp2, m0
	s_waitcnt lgkmcnt(0)
	s_and_b32 s0, s0, 0x3ff
	s_delay_alu instid0(SALU_CYCLE_1) | instskip(NEXT) | instid1(SALU_CYCLE_1)
	s_bitset1_b32 s0, 10
	s_mov_b32 m0, s0
	s_sendmsg sendmsg(MSG_INTERRUPT)
	s_mov_b32 m0, ttmp2
.LBB2_1592:                             ; =>This Inner Loop Header: Depth=1
	s_sethalt 5
	s_branch .LBB2_1592
.LBB2_1593:
	s_trap 2
	s_sendmsg_rtn_b32 s0, sendmsg(MSG_RTN_GET_DOORBELL)
	s_mov_b32 ttmp2, m0
	s_waitcnt lgkmcnt(0)
	s_and_b32 s0, s0, 0x3ff
	s_delay_alu instid0(SALU_CYCLE_1) | instskip(NEXT) | instid1(SALU_CYCLE_1)
	s_bitset1_b32 s0, 10
	s_mov_b32 m0, s0
	s_sendmsg sendmsg(MSG_INTERRUPT)
	s_mov_b32 m0, ttmp2
.LBB2_1594:                             ; =>This Inner Loop Header: Depth=1
	s_sethalt 5
	s_branch .LBB2_1594
.LBB2_1595:
	s_trap 2
	s_sendmsg_rtn_b32 s0, sendmsg(MSG_RTN_GET_DOORBELL)
	s_mov_b32 ttmp2, m0
	s_waitcnt lgkmcnt(0)
	s_and_b32 s0, s0, 0x3ff
	s_delay_alu instid0(SALU_CYCLE_1) | instskip(NEXT) | instid1(SALU_CYCLE_1)
	s_bitset1_b32 s0, 10
	s_mov_b32 m0, s0
	s_sendmsg sendmsg(MSG_INTERRUPT)
	s_mov_b32 m0, ttmp2
.LBB2_1596:                             ; =>This Inner Loop Header: Depth=1
	s_sethalt 5
	s_branch .LBB2_1596
.LBB2_1597:
	s_trap 2
	s_sendmsg_rtn_b32 s0, sendmsg(MSG_RTN_GET_DOORBELL)
	s_mov_b32 ttmp2, m0
	s_waitcnt lgkmcnt(0)
	s_and_b32 s0, s0, 0x3ff
	s_delay_alu instid0(SALU_CYCLE_1) | instskip(NEXT) | instid1(SALU_CYCLE_1)
	s_bitset1_b32 s0, 10
	s_mov_b32 m0, s0
	s_sendmsg sendmsg(MSG_INTERRUPT)
	s_mov_b32 m0, ttmp2
.LBB2_1598:                             ; =>This Inner Loop Header: Depth=1
	s_sethalt 5
	s_branch .LBB2_1598
.LBB2_1599:
	s_trap 2
	s_sendmsg_rtn_b32 s0, sendmsg(MSG_RTN_GET_DOORBELL)
	s_mov_b32 ttmp2, m0
	s_waitcnt lgkmcnt(0)
	s_and_b32 s0, s0, 0x3ff
	s_delay_alu instid0(SALU_CYCLE_1) | instskip(NEXT) | instid1(SALU_CYCLE_1)
	s_bitset1_b32 s0, 10
	s_mov_b32 m0, s0
	s_sendmsg sendmsg(MSG_INTERRUPT)
	s_mov_b32 m0, ttmp2
.LBB2_1600:                             ; =>This Inner Loop Header: Depth=1
	s_sethalt 5
	s_branch .LBB2_1600
.LBB2_1601:
	s_trap 2
	s_sendmsg_rtn_b32 s0, sendmsg(MSG_RTN_GET_DOORBELL)
	s_mov_b32 ttmp2, m0
	s_waitcnt lgkmcnt(0)
	s_and_b32 s0, s0, 0x3ff
	s_delay_alu instid0(SALU_CYCLE_1) | instskip(NEXT) | instid1(SALU_CYCLE_1)
	s_bitset1_b32 s0, 10
	s_mov_b32 m0, s0
	s_sendmsg sendmsg(MSG_INTERRUPT)
	s_mov_b32 m0, ttmp2
.LBB2_1602:                             ; =>This Inner Loop Header: Depth=1
	s_sethalt 5
	s_branch .LBB2_1602
.LBB2_1603:
	s_trap 2
	s_sendmsg_rtn_b32 s0, sendmsg(MSG_RTN_GET_DOORBELL)
	s_mov_b32 ttmp2, m0
	s_waitcnt lgkmcnt(0)
	s_and_b32 s0, s0, 0x3ff
	s_delay_alu instid0(SALU_CYCLE_1) | instskip(NEXT) | instid1(SALU_CYCLE_1)
	s_bitset1_b32 s0, 10
	s_mov_b32 m0, s0
	s_sendmsg sendmsg(MSG_INTERRUPT)
	s_mov_b32 m0, ttmp2
.LBB2_1604:                             ; =>This Inner Loop Header: Depth=1
	s_sethalt 5
	s_branch .LBB2_1604
.LBB2_1605:
	s_trap 2
	s_sendmsg_rtn_b32 s0, sendmsg(MSG_RTN_GET_DOORBELL)
	s_mov_b32 ttmp2, m0
	s_waitcnt lgkmcnt(0)
	s_and_b32 s0, s0, 0x3ff
	s_delay_alu instid0(SALU_CYCLE_1) | instskip(NEXT) | instid1(SALU_CYCLE_1)
	s_bitset1_b32 s0, 10
	s_mov_b32 m0, s0
	s_sendmsg sendmsg(MSG_INTERRUPT)
	s_mov_b32 m0, ttmp2
.LBB2_1606:                             ; =>This Inner Loop Header: Depth=1
	s_sethalt 5
	s_branch .LBB2_1606
.LBB2_1607:
	s_trap 2
	s_sendmsg_rtn_b32 s0, sendmsg(MSG_RTN_GET_DOORBELL)
	s_mov_b32 ttmp2, m0
	s_waitcnt lgkmcnt(0)
	s_and_b32 s0, s0, 0x3ff
	s_delay_alu instid0(SALU_CYCLE_1) | instskip(NEXT) | instid1(SALU_CYCLE_1)
	s_bitset1_b32 s0, 10
	s_mov_b32 m0, s0
	s_sendmsg sendmsg(MSG_INTERRUPT)
	s_mov_b32 m0, ttmp2
.LBB2_1608:                             ; =>This Inner Loop Header: Depth=1
	s_sethalt 5
	s_branch .LBB2_1608
.LBB2_1609:
	s_trap 2
	s_sendmsg_rtn_b32 s0, sendmsg(MSG_RTN_GET_DOORBELL)
	s_mov_b32 ttmp2, m0
	s_waitcnt lgkmcnt(0)
	s_and_b32 s0, s0, 0x3ff
	s_delay_alu instid0(SALU_CYCLE_1) | instskip(NEXT) | instid1(SALU_CYCLE_1)
	s_bitset1_b32 s0, 10
	s_mov_b32 m0, s0
	s_sendmsg sendmsg(MSG_INTERRUPT)
	s_mov_b32 m0, ttmp2
.LBB2_1610:                             ; =>This Inner Loop Header: Depth=1
	s_sethalt 5
	s_branch .LBB2_1610
.LBB2_1611:
	s_trap 2
	s_sendmsg_rtn_b32 s0, sendmsg(MSG_RTN_GET_DOORBELL)
	s_mov_b32 ttmp2, m0
	s_waitcnt lgkmcnt(0)
	s_and_b32 s0, s0, 0x3ff
	s_delay_alu instid0(SALU_CYCLE_1) | instskip(NEXT) | instid1(SALU_CYCLE_1)
	s_bitset1_b32 s0, 10
	s_mov_b32 m0, s0
	s_sendmsg sendmsg(MSG_INTERRUPT)
	s_mov_b32 m0, ttmp2
.LBB2_1612:                             ; =>This Inner Loop Header: Depth=1
	s_sethalt 5
	s_branch .LBB2_1612
.LBB2_1613:
	s_trap 2
	s_sendmsg_rtn_b32 s0, sendmsg(MSG_RTN_GET_DOORBELL)
	s_mov_b32 ttmp2, m0
	s_waitcnt lgkmcnt(0)
	s_and_b32 s0, s0, 0x3ff
	s_delay_alu instid0(SALU_CYCLE_1) | instskip(NEXT) | instid1(SALU_CYCLE_1)
	s_bitset1_b32 s0, 10
	s_mov_b32 m0, s0
	s_sendmsg sendmsg(MSG_INTERRUPT)
	s_mov_b32 m0, ttmp2
.LBB2_1614:                             ; =>This Inner Loop Header: Depth=1
	s_sethalt 5
	s_branch .LBB2_1614
.LBB2_1615:
	s_trap 2
	s_sendmsg_rtn_b32 s0, sendmsg(MSG_RTN_GET_DOORBELL)
	s_mov_b32 ttmp2, m0
	s_waitcnt lgkmcnt(0)
	s_and_b32 s0, s0, 0x3ff
	s_delay_alu instid0(SALU_CYCLE_1) | instskip(NEXT) | instid1(SALU_CYCLE_1)
	s_bitset1_b32 s0, 10
	s_mov_b32 m0, s0
	s_sendmsg sendmsg(MSG_INTERRUPT)
	s_mov_b32 m0, ttmp2
.LBB2_1616:                             ; =>This Inner Loop Header: Depth=1
	s_sethalt 5
	s_branch .LBB2_1616
.LBB2_1617:
	s_trap 2
	s_sendmsg_rtn_b32 s0, sendmsg(MSG_RTN_GET_DOORBELL)
	s_mov_b32 ttmp2, m0
	s_waitcnt lgkmcnt(0)
	s_and_b32 s0, s0, 0x3ff
	s_delay_alu instid0(SALU_CYCLE_1) | instskip(NEXT) | instid1(SALU_CYCLE_1)
	s_bitset1_b32 s0, 10
	s_mov_b32 m0, s0
	s_sendmsg sendmsg(MSG_INTERRUPT)
	s_mov_b32 m0, ttmp2
.LBB2_1618:                             ; =>This Inner Loop Header: Depth=1
	s_sethalt 5
	s_branch .LBB2_1618
.LBB2_1619:
	s_trap 2
	s_sendmsg_rtn_b32 s0, sendmsg(MSG_RTN_GET_DOORBELL)
	s_mov_b32 ttmp2, m0
	s_waitcnt lgkmcnt(0)
	s_and_b32 s0, s0, 0x3ff
	s_delay_alu instid0(SALU_CYCLE_1) | instskip(NEXT) | instid1(SALU_CYCLE_1)
	s_bitset1_b32 s0, 10
	s_mov_b32 m0, s0
	s_sendmsg sendmsg(MSG_INTERRUPT)
	s_mov_b32 m0, ttmp2
.LBB2_1620:                             ; =>This Inner Loop Header: Depth=1
	s_sethalt 5
	s_branch .LBB2_1620
.LBB2_1621:
	s_trap 2
	s_sendmsg_rtn_b32 s0, sendmsg(MSG_RTN_GET_DOORBELL)
	s_mov_b32 ttmp2, m0
	s_waitcnt lgkmcnt(0)
	s_and_b32 s0, s0, 0x3ff
	s_delay_alu instid0(SALU_CYCLE_1) | instskip(NEXT) | instid1(SALU_CYCLE_1)
	s_bitset1_b32 s0, 10
	s_mov_b32 m0, s0
	s_sendmsg sendmsg(MSG_INTERRUPT)
	s_mov_b32 m0, ttmp2
.LBB2_1622:                             ; =>This Inner Loop Header: Depth=1
	s_sethalt 5
	s_branch .LBB2_1622
.LBB2_1623:
	s_trap 2
	s_sendmsg_rtn_b32 s0, sendmsg(MSG_RTN_GET_DOORBELL)
	s_mov_b32 ttmp2, m0
	s_waitcnt lgkmcnt(0)
	s_and_b32 s0, s0, 0x3ff
	s_delay_alu instid0(SALU_CYCLE_1) | instskip(NEXT) | instid1(SALU_CYCLE_1)
	s_bitset1_b32 s0, 10
	s_mov_b32 m0, s0
	s_sendmsg sendmsg(MSG_INTERRUPT)
	s_mov_b32 m0, ttmp2
.LBB2_1624:                             ; =>This Inner Loop Header: Depth=1
	s_sethalt 5
	s_branch .LBB2_1624
.LBB2_1625:
	s_trap 2
	s_sendmsg_rtn_b32 s0, sendmsg(MSG_RTN_GET_DOORBELL)
	s_mov_b32 ttmp2, m0
	s_waitcnt lgkmcnt(0)
	s_and_b32 s0, s0, 0x3ff
	s_delay_alu instid0(SALU_CYCLE_1) | instskip(NEXT) | instid1(SALU_CYCLE_1)
	s_bitset1_b32 s0, 10
	s_mov_b32 m0, s0
	s_sendmsg sendmsg(MSG_INTERRUPT)
	s_mov_b32 m0, ttmp2
.LBB2_1626:                             ; =>This Inner Loop Header: Depth=1
	s_sethalt 5
	s_branch .LBB2_1626
.LBB2_1627:
	s_trap 2
	s_sendmsg_rtn_b32 s0, sendmsg(MSG_RTN_GET_DOORBELL)
	s_mov_b32 ttmp2, m0
	s_waitcnt lgkmcnt(0)
	s_and_b32 s0, s0, 0x3ff
	s_delay_alu instid0(SALU_CYCLE_1) | instskip(NEXT) | instid1(SALU_CYCLE_1)
	s_bitset1_b32 s0, 10
	s_mov_b32 m0, s0
	s_sendmsg sendmsg(MSG_INTERRUPT)
	s_mov_b32 m0, ttmp2
.LBB2_1628:                             ; =>This Inner Loop Header: Depth=1
	s_sethalt 5
	s_branch .LBB2_1628
.LBB2_1629:
	s_trap 2
	s_sendmsg_rtn_b32 s0, sendmsg(MSG_RTN_GET_DOORBELL)
	s_mov_b32 ttmp2, m0
	s_waitcnt lgkmcnt(0)
	s_and_b32 s0, s0, 0x3ff
	s_delay_alu instid0(SALU_CYCLE_1) | instskip(NEXT) | instid1(SALU_CYCLE_1)
	s_bitset1_b32 s0, 10
	s_mov_b32 m0, s0
	s_sendmsg sendmsg(MSG_INTERRUPT)
	s_mov_b32 m0, ttmp2
.LBB2_1630:                             ; =>This Inner Loop Header: Depth=1
	s_sethalt 5
	s_branch .LBB2_1630
.LBB2_1631:
	s_trap 2
	s_sendmsg_rtn_b32 s0, sendmsg(MSG_RTN_GET_DOORBELL)
	s_mov_b32 ttmp2, m0
	s_waitcnt lgkmcnt(0)
	s_and_b32 s0, s0, 0x3ff
	s_delay_alu instid0(SALU_CYCLE_1) | instskip(NEXT) | instid1(SALU_CYCLE_1)
	s_bitset1_b32 s0, 10
	s_mov_b32 m0, s0
	s_sendmsg sendmsg(MSG_INTERRUPT)
	s_mov_b32 m0, ttmp2
.LBB2_1632:                             ; =>This Inner Loop Header: Depth=1
	s_sethalt 5
	s_branch .LBB2_1632
.LBB2_1633:
	s_trap 2
	s_sendmsg_rtn_b32 s0, sendmsg(MSG_RTN_GET_DOORBELL)
	s_mov_b32 ttmp2, m0
	s_waitcnt lgkmcnt(0)
	s_and_b32 s0, s0, 0x3ff
	s_delay_alu instid0(SALU_CYCLE_1) | instskip(NEXT) | instid1(SALU_CYCLE_1)
	s_bitset1_b32 s0, 10
	s_mov_b32 m0, s0
	s_sendmsg sendmsg(MSG_INTERRUPT)
	s_mov_b32 m0, ttmp2
.LBB2_1634:                             ; =>This Inner Loop Header: Depth=1
	s_sethalt 5
	s_branch .LBB2_1634
.LBB2_1635:
	s_trap 2
	s_sendmsg_rtn_b32 s0, sendmsg(MSG_RTN_GET_DOORBELL)
	s_mov_b32 ttmp2, m0
	s_waitcnt lgkmcnt(0)
	s_and_b32 s0, s0, 0x3ff
	s_delay_alu instid0(SALU_CYCLE_1) | instskip(NEXT) | instid1(SALU_CYCLE_1)
	s_bitset1_b32 s0, 10
	s_mov_b32 m0, s0
	s_sendmsg sendmsg(MSG_INTERRUPT)
	s_mov_b32 m0, ttmp2
.LBB2_1636:                             ; =>This Inner Loop Header: Depth=1
	s_sethalt 5
	s_branch .LBB2_1636
.LBB2_1637:
	s_trap 2
	s_sendmsg_rtn_b32 s0, sendmsg(MSG_RTN_GET_DOORBELL)
	s_mov_b32 ttmp2, m0
	s_waitcnt lgkmcnt(0)
	s_and_b32 s0, s0, 0x3ff
	s_delay_alu instid0(SALU_CYCLE_1) | instskip(NEXT) | instid1(SALU_CYCLE_1)
	s_bitset1_b32 s0, 10
	s_mov_b32 m0, s0
	s_sendmsg sendmsg(MSG_INTERRUPT)
	s_mov_b32 m0, ttmp2
.LBB2_1638:                             ; =>This Inner Loop Header: Depth=1
	s_sethalt 5
	s_branch .LBB2_1638
.LBB2_1639:
	s_trap 2
	s_sendmsg_rtn_b32 s0, sendmsg(MSG_RTN_GET_DOORBELL)
	s_mov_b32 ttmp2, m0
	s_waitcnt lgkmcnt(0)
	s_and_b32 s0, s0, 0x3ff
	s_delay_alu instid0(SALU_CYCLE_1) | instskip(NEXT) | instid1(SALU_CYCLE_1)
	s_bitset1_b32 s0, 10
	s_mov_b32 m0, s0
	s_sendmsg sendmsg(MSG_INTERRUPT)
	s_mov_b32 m0, ttmp2
.LBB2_1640:                             ; =>This Inner Loop Header: Depth=1
	s_sethalt 5
	s_branch .LBB2_1640
.LBB2_1641:
	s_trap 2
	s_sendmsg_rtn_b32 s0, sendmsg(MSG_RTN_GET_DOORBELL)
	s_mov_b32 ttmp2, m0
	s_waitcnt lgkmcnt(0)
	s_and_b32 s0, s0, 0x3ff
	s_delay_alu instid0(SALU_CYCLE_1) | instskip(NEXT) | instid1(SALU_CYCLE_1)
	s_bitset1_b32 s0, 10
	s_mov_b32 m0, s0
	s_sendmsg sendmsg(MSG_INTERRUPT)
	s_mov_b32 m0, ttmp2
.LBB2_1642:                             ; =>This Inner Loop Header: Depth=1
	s_sethalt 5
	s_branch .LBB2_1642
.LBB2_1643:
	s_trap 2
	s_sendmsg_rtn_b32 s0, sendmsg(MSG_RTN_GET_DOORBELL)
	s_mov_b32 ttmp2, m0
	s_waitcnt lgkmcnt(0)
	s_and_b32 s0, s0, 0x3ff
	s_delay_alu instid0(SALU_CYCLE_1) | instskip(NEXT) | instid1(SALU_CYCLE_1)
	s_bitset1_b32 s0, 10
	s_mov_b32 m0, s0
	s_sendmsg sendmsg(MSG_INTERRUPT)
	s_mov_b32 m0, ttmp2
.LBB2_1644:                             ; =>This Inner Loop Header: Depth=1
	s_sethalt 5
	s_branch .LBB2_1644
.LBB2_1645:
	s_trap 2
	s_sendmsg_rtn_b32 s0, sendmsg(MSG_RTN_GET_DOORBELL)
	s_mov_b32 ttmp2, m0
	s_waitcnt lgkmcnt(0)
	s_and_b32 s0, s0, 0x3ff
	s_delay_alu instid0(SALU_CYCLE_1) | instskip(NEXT) | instid1(SALU_CYCLE_1)
	s_bitset1_b32 s0, 10
	s_mov_b32 m0, s0
	s_sendmsg sendmsg(MSG_INTERRUPT)
	s_mov_b32 m0, ttmp2
.LBB2_1646:                             ; =>This Inner Loop Header: Depth=1
	s_sethalt 5
	s_branch .LBB2_1646
.LBB2_1647:
	s_trap 2
	s_sendmsg_rtn_b32 s0, sendmsg(MSG_RTN_GET_DOORBELL)
	s_mov_b32 ttmp2, m0
	s_waitcnt lgkmcnt(0)
	s_and_b32 s0, s0, 0x3ff
	s_delay_alu instid0(SALU_CYCLE_1) | instskip(NEXT) | instid1(SALU_CYCLE_1)
	s_bitset1_b32 s0, 10
	s_mov_b32 m0, s0
	s_sendmsg sendmsg(MSG_INTERRUPT)
	s_mov_b32 m0, ttmp2
.LBB2_1648:                             ; =>This Inner Loop Header: Depth=1
	s_sethalt 5
	s_branch .LBB2_1648
.LBB2_1649:
	s_trap 2
	s_sendmsg_rtn_b32 s0, sendmsg(MSG_RTN_GET_DOORBELL)
	s_mov_b32 ttmp2, m0
	s_waitcnt lgkmcnt(0)
	s_and_b32 s0, s0, 0x3ff
	s_delay_alu instid0(SALU_CYCLE_1) | instskip(NEXT) | instid1(SALU_CYCLE_1)
	s_bitset1_b32 s0, 10
	s_mov_b32 m0, s0
	s_sendmsg sendmsg(MSG_INTERRUPT)
	s_mov_b32 m0, ttmp2
.LBB2_1650:                             ; =>This Inner Loop Header: Depth=1
	s_sethalt 5
	s_branch .LBB2_1650
.LBB2_1651:
	s_trap 2
	s_sendmsg_rtn_b32 s0, sendmsg(MSG_RTN_GET_DOORBELL)
	s_mov_b32 ttmp2, m0
	s_waitcnt lgkmcnt(0)
	s_and_b32 s0, s0, 0x3ff
	s_delay_alu instid0(SALU_CYCLE_1) | instskip(NEXT) | instid1(SALU_CYCLE_1)
	s_bitset1_b32 s0, 10
	s_mov_b32 m0, s0
	s_sendmsg sendmsg(MSG_INTERRUPT)
	s_mov_b32 m0, ttmp2
.LBB2_1652:                             ; =>This Inner Loop Header: Depth=1
	s_sethalt 5
	s_branch .LBB2_1652
.LBB2_1653:
	s_trap 2
	s_sendmsg_rtn_b32 s0, sendmsg(MSG_RTN_GET_DOORBELL)
	s_mov_b32 ttmp2, m0
	s_waitcnt lgkmcnt(0)
	s_and_b32 s0, s0, 0x3ff
	s_delay_alu instid0(SALU_CYCLE_1) | instskip(NEXT) | instid1(SALU_CYCLE_1)
	s_bitset1_b32 s0, 10
	s_mov_b32 m0, s0
	s_sendmsg sendmsg(MSG_INTERRUPT)
	s_mov_b32 m0, ttmp2
.LBB2_1654:                             ; =>This Inner Loop Header: Depth=1
	s_sethalt 5
	s_branch .LBB2_1654
.LBB2_1655:
	s_trap 2
	s_sendmsg_rtn_b32 s0, sendmsg(MSG_RTN_GET_DOORBELL)
	s_mov_b32 ttmp2, m0
	s_waitcnt lgkmcnt(0)
	s_and_b32 s0, s0, 0x3ff
	s_delay_alu instid0(SALU_CYCLE_1) | instskip(NEXT) | instid1(SALU_CYCLE_1)
	s_bitset1_b32 s0, 10
	s_mov_b32 m0, s0
	s_sendmsg sendmsg(MSG_INTERRUPT)
	s_mov_b32 m0, ttmp2
.LBB2_1656:                             ; =>This Inner Loop Header: Depth=1
	s_sethalt 5
	s_branch .LBB2_1656
.LBB2_1657:
	s_trap 2
	s_sendmsg_rtn_b32 s0, sendmsg(MSG_RTN_GET_DOORBELL)
	s_mov_b32 ttmp2, m0
	s_waitcnt lgkmcnt(0)
	s_and_b32 s0, s0, 0x3ff
	s_delay_alu instid0(SALU_CYCLE_1) | instskip(NEXT) | instid1(SALU_CYCLE_1)
	s_bitset1_b32 s0, 10
	s_mov_b32 m0, s0
	s_sendmsg sendmsg(MSG_INTERRUPT)
	s_mov_b32 m0, ttmp2
.LBB2_1658:                             ; =>This Inner Loop Header: Depth=1
	s_sethalt 5
	s_branch .LBB2_1658
.LBB2_1659:
	s_trap 2
	s_sendmsg_rtn_b32 s0, sendmsg(MSG_RTN_GET_DOORBELL)
	s_mov_b32 ttmp2, m0
	s_waitcnt lgkmcnt(0)
	s_and_b32 s0, s0, 0x3ff
	s_delay_alu instid0(SALU_CYCLE_1) | instskip(NEXT) | instid1(SALU_CYCLE_1)
	s_bitset1_b32 s0, 10
	s_mov_b32 m0, s0
	s_sendmsg sendmsg(MSG_INTERRUPT)
	s_mov_b32 m0, ttmp2
.LBB2_1660:                             ; =>This Inner Loop Header: Depth=1
	s_sethalt 5
	s_branch .LBB2_1660
.LBB2_1661:
	s_trap 2
	s_sendmsg_rtn_b32 s0, sendmsg(MSG_RTN_GET_DOORBELL)
	s_mov_b32 ttmp2, m0
	s_waitcnt lgkmcnt(0)
	s_and_b32 s0, s0, 0x3ff
	s_delay_alu instid0(SALU_CYCLE_1) | instskip(NEXT) | instid1(SALU_CYCLE_1)
	s_bitset1_b32 s0, 10
	s_mov_b32 m0, s0
	s_sendmsg sendmsg(MSG_INTERRUPT)
	s_mov_b32 m0, ttmp2
.LBB2_1662:                             ; =>This Inner Loop Header: Depth=1
	s_sethalt 5
	s_branch .LBB2_1662
.LBB2_1663:
	s_trap 2
	s_sendmsg_rtn_b32 s0, sendmsg(MSG_RTN_GET_DOORBELL)
	s_mov_b32 ttmp2, m0
	s_waitcnt lgkmcnt(0)
	s_and_b32 s0, s0, 0x3ff
	s_delay_alu instid0(SALU_CYCLE_1) | instskip(NEXT) | instid1(SALU_CYCLE_1)
	s_bitset1_b32 s0, 10
	s_mov_b32 m0, s0
	s_sendmsg sendmsg(MSG_INTERRUPT)
	s_mov_b32 m0, ttmp2
.LBB2_1664:                             ; =>This Inner Loop Header: Depth=1
	s_sethalt 5
	s_branch .LBB2_1664
.LBB2_1665:
	s_trap 2
	s_sendmsg_rtn_b32 s0, sendmsg(MSG_RTN_GET_DOORBELL)
	s_mov_b32 ttmp2, m0
	s_waitcnt lgkmcnt(0)
	s_and_b32 s0, s0, 0x3ff
	s_delay_alu instid0(SALU_CYCLE_1) | instskip(NEXT) | instid1(SALU_CYCLE_1)
	s_bitset1_b32 s0, 10
	s_mov_b32 m0, s0
	s_sendmsg sendmsg(MSG_INTERRUPT)
	s_mov_b32 m0, ttmp2
.LBB2_1666:                             ; =>This Inner Loop Header: Depth=1
	s_sethalt 5
	s_branch .LBB2_1666
.LBB2_1667:
	s_trap 2
	s_sendmsg_rtn_b32 s0, sendmsg(MSG_RTN_GET_DOORBELL)
	s_mov_b32 ttmp2, m0
	s_waitcnt lgkmcnt(0)
	s_and_b32 s0, s0, 0x3ff
	s_delay_alu instid0(SALU_CYCLE_1) | instskip(NEXT) | instid1(SALU_CYCLE_1)
	s_bitset1_b32 s0, 10
	s_mov_b32 m0, s0
	s_sendmsg sendmsg(MSG_INTERRUPT)
	s_mov_b32 m0, ttmp2
.LBB2_1668:                             ; =>This Inner Loop Header: Depth=1
	s_sethalt 5
	s_branch .LBB2_1668
.LBB2_1669:
	s_trap 2
	s_sendmsg_rtn_b32 s0, sendmsg(MSG_RTN_GET_DOORBELL)
	s_mov_b32 ttmp2, m0
	s_waitcnt lgkmcnt(0)
	s_and_b32 s0, s0, 0x3ff
	s_delay_alu instid0(SALU_CYCLE_1) | instskip(NEXT) | instid1(SALU_CYCLE_1)
	s_bitset1_b32 s0, 10
	s_mov_b32 m0, s0
	s_sendmsg sendmsg(MSG_INTERRUPT)
	s_mov_b32 m0, ttmp2
.LBB2_1670:                             ; =>This Inner Loop Header: Depth=1
	s_sethalt 5
	s_branch .LBB2_1670
.LBB2_1671:
	s_trap 2
	s_sendmsg_rtn_b32 s0, sendmsg(MSG_RTN_GET_DOORBELL)
	s_mov_b32 ttmp2, m0
	s_waitcnt lgkmcnt(0)
	s_and_b32 s0, s0, 0x3ff
	s_delay_alu instid0(SALU_CYCLE_1) | instskip(NEXT) | instid1(SALU_CYCLE_1)
	s_bitset1_b32 s0, 10
	s_mov_b32 m0, s0
	s_sendmsg sendmsg(MSG_INTERRUPT)
	s_mov_b32 m0, ttmp2
.LBB2_1672:                             ; =>This Inner Loop Header: Depth=1
	s_sethalt 5
	s_branch .LBB2_1672
.LBB2_1673:
	s_trap 2
	s_sendmsg_rtn_b32 s0, sendmsg(MSG_RTN_GET_DOORBELL)
	s_mov_b32 ttmp2, m0
	s_waitcnt lgkmcnt(0)
	s_and_b32 s0, s0, 0x3ff
	s_delay_alu instid0(SALU_CYCLE_1) | instskip(NEXT) | instid1(SALU_CYCLE_1)
	s_bitset1_b32 s0, 10
	s_mov_b32 m0, s0
	s_sendmsg sendmsg(MSG_INTERRUPT)
	s_mov_b32 m0, ttmp2
.LBB2_1674:                             ; =>This Inner Loop Header: Depth=1
	s_sethalt 5
	s_branch .LBB2_1674
.LBB2_1675:
	s_trap 2
	s_sendmsg_rtn_b32 s0, sendmsg(MSG_RTN_GET_DOORBELL)
	s_mov_b32 ttmp2, m0
	s_waitcnt lgkmcnt(0)
	s_and_b32 s0, s0, 0x3ff
	s_delay_alu instid0(SALU_CYCLE_1) | instskip(NEXT) | instid1(SALU_CYCLE_1)
	s_bitset1_b32 s0, 10
	s_mov_b32 m0, s0
	s_sendmsg sendmsg(MSG_INTERRUPT)
	s_mov_b32 m0, ttmp2
.LBB2_1676:                             ; =>This Inner Loop Header: Depth=1
	s_sethalt 5
	s_branch .LBB2_1676
.LBB2_1677:
	s_trap 2
	s_sendmsg_rtn_b32 s0, sendmsg(MSG_RTN_GET_DOORBELL)
	s_mov_b32 ttmp2, m0
	s_waitcnt lgkmcnt(0)
	s_and_b32 s0, s0, 0x3ff
	s_delay_alu instid0(SALU_CYCLE_1) | instskip(NEXT) | instid1(SALU_CYCLE_1)
	s_bitset1_b32 s0, 10
	s_mov_b32 m0, s0
	s_sendmsg sendmsg(MSG_INTERRUPT)
	s_mov_b32 m0, ttmp2
.LBB2_1678:                             ; =>This Inner Loop Header: Depth=1
	s_sethalt 5
	s_branch .LBB2_1678
.LBB2_1679:
	s_trap 2
	s_sendmsg_rtn_b32 s0, sendmsg(MSG_RTN_GET_DOORBELL)
	s_mov_b32 ttmp2, m0
	s_waitcnt lgkmcnt(0)
	s_and_b32 s0, s0, 0x3ff
	s_delay_alu instid0(SALU_CYCLE_1) | instskip(NEXT) | instid1(SALU_CYCLE_1)
	s_bitset1_b32 s0, 10
	s_mov_b32 m0, s0
	s_sendmsg sendmsg(MSG_INTERRUPT)
	s_mov_b32 m0, ttmp2
.LBB2_1680:                             ; =>This Inner Loop Header: Depth=1
	s_sethalt 5
	s_branch .LBB2_1680
.LBB2_1681:
	s_trap 2
	s_sendmsg_rtn_b32 s0, sendmsg(MSG_RTN_GET_DOORBELL)
	s_mov_b32 ttmp2, m0
	s_waitcnt lgkmcnt(0)
	s_and_b32 s0, s0, 0x3ff
	s_delay_alu instid0(SALU_CYCLE_1) | instskip(NEXT) | instid1(SALU_CYCLE_1)
	s_bitset1_b32 s0, 10
	s_mov_b32 m0, s0
	s_sendmsg sendmsg(MSG_INTERRUPT)
	s_mov_b32 m0, ttmp2
.LBB2_1682:                             ; =>This Inner Loop Header: Depth=1
	s_sethalt 5
	s_branch .LBB2_1682
.LBB2_1683:
	s_trap 2
	s_sendmsg_rtn_b32 s0, sendmsg(MSG_RTN_GET_DOORBELL)
	s_mov_b32 ttmp2, m0
	s_waitcnt lgkmcnt(0)
	s_and_b32 s0, s0, 0x3ff
	s_delay_alu instid0(SALU_CYCLE_1) | instskip(NEXT) | instid1(SALU_CYCLE_1)
	s_bitset1_b32 s0, 10
	s_mov_b32 m0, s0
	s_sendmsg sendmsg(MSG_INTERRUPT)
	s_mov_b32 m0, ttmp2
.LBB2_1684:                             ; =>This Inner Loop Header: Depth=1
	s_sethalt 5
	s_branch .LBB2_1684
.LBB2_1685:
	s_trap 2
	s_sendmsg_rtn_b32 s0, sendmsg(MSG_RTN_GET_DOORBELL)
	s_mov_b32 ttmp2, m0
	s_waitcnt lgkmcnt(0)
	s_and_b32 s0, s0, 0x3ff
	s_delay_alu instid0(SALU_CYCLE_1) | instskip(NEXT) | instid1(SALU_CYCLE_1)
	s_bitset1_b32 s0, 10
	s_mov_b32 m0, s0
	s_sendmsg sendmsg(MSG_INTERRUPT)
	s_mov_b32 m0, ttmp2
.LBB2_1686:                             ; =>This Inner Loop Header: Depth=1
	s_sethalt 5
	s_branch .LBB2_1686
.LBB2_1687:
	s_trap 2
	s_sendmsg_rtn_b32 s0, sendmsg(MSG_RTN_GET_DOORBELL)
	s_mov_b32 ttmp2, m0
	s_waitcnt lgkmcnt(0)
	s_and_b32 s0, s0, 0x3ff
	s_delay_alu instid0(SALU_CYCLE_1) | instskip(NEXT) | instid1(SALU_CYCLE_1)
	s_bitset1_b32 s0, 10
	s_mov_b32 m0, s0
	s_sendmsg sendmsg(MSG_INTERRUPT)
	s_mov_b32 m0, ttmp2
.LBB2_1688:                             ; =>This Inner Loop Header: Depth=1
	s_sethalt 5
	s_branch .LBB2_1688
.LBB2_1689:
	s_trap 2
	s_sendmsg_rtn_b32 s0, sendmsg(MSG_RTN_GET_DOORBELL)
	s_mov_b32 ttmp2, m0
	s_waitcnt lgkmcnt(0)
	s_and_b32 s0, s0, 0x3ff
	s_delay_alu instid0(SALU_CYCLE_1) | instskip(NEXT) | instid1(SALU_CYCLE_1)
	s_bitset1_b32 s0, 10
	s_mov_b32 m0, s0
	s_sendmsg sendmsg(MSG_INTERRUPT)
	s_mov_b32 m0, ttmp2
.LBB2_1690:                             ; =>This Inner Loop Header: Depth=1
	s_sethalt 5
	s_branch .LBB2_1690
.LBB2_1691:
	s_trap 2
	s_sendmsg_rtn_b32 s0, sendmsg(MSG_RTN_GET_DOORBELL)
	s_mov_b32 ttmp2, m0
	s_waitcnt lgkmcnt(0)
	s_and_b32 s0, s0, 0x3ff
	s_delay_alu instid0(SALU_CYCLE_1) | instskip(NEXT) | instid1(SALU_CYCLE_1)
	s_bitset1_b32 s0, 10
	s_mov_b32 m0, s0
	s_sendmsg sendmsg(MSG_INTERRUPT)
	s_mov_b32 m0, ttmp2
.LBB2_1692:                             ; =>This Inner Loop Header: Depth=1
	s_sethalt 5
	s_branch .LBB2_1692
.LBB2_1693:
	s_trap 2
	s_sendmsg_rtn_b32 s0, sendmsg(MSG_RTN_GET_DOORBELL)
	s_mov_b32 ttmp2, m0
	s_waitcnt lgkmcnt(0)
	s_and_b32 s0, s0, 0x3ff
	s_delay_alu instid0(SALU_CYCLE_1) | instskip(NEXT) | instid1(SALU_CYCLE_1)
	s_bitset1_b32 s0, 10
	s_mov_b32 m0, s0
	s_sendmsg sendmsg(MSG_INTERRUPT)
	s_mov_b32 m0, ttmp2
.LBB2_1694:                             ; =>This Inner Loop Header: Depth=1
	s_sethalt 5
	s_branch .LBB2_1694
.LBB2_1695:
	s_trap 2
	s_sendmsg_rtn_b32 s0, sendmsg(MSG_RTN_GET_DOORBELL)
	s_mov_b32 ttmp2, m0
	s_waitcnt lgkmcnt(0)
	s_and_b32 s0, s0, 0x3ff
	s_delay_alu instid0(SALU_CYCLE_1) | instskip(NEXT) | instid1(SALU_CYCLE_1)
	s_bitset1_b32 s0, 10
	s_mov_b32 m0, s0
	s_sendmsg sendmsg(MSG_INTERRUPT)
	s_mov_b32 m0, ttmp2
.LBB2_1696:                             ; =>This Inner Loop Header: Depth=1
	s_sethalt 5
	s_branch .LBB2_1696
.LBB2_1697:
	s_trap 2
	s_sendmsg_rtn_b32 s0, sendmsg(MSG_RTN_GET_DOORBELL)
	s_mov_b32 ttmp2, m0
	s_waitcnt lgkmcnt(0)
	s_and_b32 s0, s0, 0x3ff
	s_delay_alu instid0(SALU_CYCLE_1) | instskip(NEXT) | instid1(SALU_CYCLE_1)
	s_bitset1_b32 s0, 10
	s_mov_b32 m0, s0
	s_sendmsg sendmsg(MSG_INTERRUPT)
	s_mov_b32 m0, ttmp2
.LBB2_1698:                             ; =>This Inner Loop Header: Depth=1
	s_sethalt 5
	s_branch .LBB2_1698
.LBB2_1699:
	s_or_b32 exec_lo, exec_lo, s4
	s_and_saveexec_b32 s4, s5
	s_delay_alu instid0(SALU_CYCLE_1)
	s_xor_b32 s4, exec_lo, s4
	s_cbranch_execz .LBB2_1701
; %bb.1700:
	v_mov_b32_e32 v0, 1
	ds_store_b32 v0, v0
	s_cbranch_execnz .LBB2_1793
.LBB2_1701:
	s_or_b32 exec_lo, exec_lo, s3
	;;#ASMSTART
	s_wakeup
	;;#ASMEND
.LBB2_1702:
	s_or_b32 exec_lo, exec_lo, s2
.LBB2_1703:
	s_and_not1_saveexec_b32 s1, s1
	s_cbranch_execz .LBB2_1705
; %bb.1704:
	s_waitcnt lgkmcnt(0)
	s_waitcnt_vscnt null, 0x0
	buffer_gl1_inv
	buffer_gl0_inv
	s_barrier
.LBB2_1705:
	s_or_b32 exec_lo, exec_lo, s0
.LBB2_1706:
	s_and_not1_saveexec_b32 s21, s24
	s_cbranch_execz .LBB2_1708
; %bb.1707:
	s_getpc_b64 s[0:1]
	s_add_u32 s0, s0, __PRETTY_FUNCTION__._ZN10PrimitivesIm14FuncSumPostDivImE12FanSymmetricILi1EELi0E11ProtoSimpleILi2ELi2ELi0ELi1ELi0ELi0EELi0ELb0ELi0ELi0ELi0EEC2EiiPKiS8_PKvPvmhhhP15ncclDevWorkCollP14ncclDevWorkP2pii@rel32@lo+4
	s_addc_u32 s1, s1, __PRETTY_FUNCTION__._ZN10PrimitivesIm14FuncSumPostDivImE12FanSymmetricILi1EELi0E11ProtoSimpleILi2ELi2ELi0ELi1ELi0ELi0EELi0ELb0ELi0ELi0ELi0EEC2EiiPKiS8_PKvPvmhhhP15ncclDevWorkCollP14ncclDevWorkP2pii@rel32@hi+12
	s_delay_alu instid0(SALU_CYCLE_1) | instskip(SKIP_3) | instid1(SALU_CYCLE_1)
	v_dual_mov_b32 v0, s0 :: v_dual_mov_b32 v1, s1
	s_getpc_b64 s[2:3]
	s_add_u32 s2, s2, __assert_fail@rel32@lo+4
	s_addc_u32 s3, s3, __assert_fail@rel32@hi+12
	s_swappc_b64 s[30:31], s[2:3]
	; divergent unreachable
.LBB2_1708:
	s_or_b32 exec_lo, exec_lo, s21
	scratch_load_b32 v40, off, s33          ; 4-byte Folded Reload
	v_readlane_b32 s30, v41, 9
	v_readlane_b32 s31, v41, 10
	;; [unrolled: 1-line block ×12, first 2 shown]
	s_or_saveexec_b32 s1, -1
	s_clause 0x1
	scratch_load_b32 v41, off, s33 offset:4
	scratch_load_b32 v42, off, s33 offset:8
	s_mov_b32 exec_lo, s1
	s_add_i32 s32, s32, -16
	s_mov_b32 s33, s0
	s_waitcnt vmcnt(0) lgkmcnt(0)
	s_setpc_b64 s[30:31]
.LBB2_1709:
	s_trap 2
	s_sendmsg_rtn_b32 s0, sendmsg(MSG_RTN_GET_DOORBELL)
	s_mov_b32 ttmp2, m0
	s_waitcnt lgkmcnt(0)
	s_and_b32 s0, s0, 0x3ff
	s_delay_alu instid0(SALU_CYCLE_1) | instskip(NEXT) | instid1(SALU_CYCLE_1)
	s_bitset1_b32 s0, 10
	s_mov_b32 m0, s0
	s_sendmsg sendmsg(MSG_INTERRUPT)
	s_mov_b32 m0, ttmp2
.LBB2_1710:                             ; =>This Inner Loop Header: Depth=1
	s_sethalt 5
	s_branch .LBB2_1710
.LBB2_1711:
	s_trap 2
	s_sendmsg_rtn_b32 s0, sendmsg(MSG_RTN_GET_DOORBELL)
	s_mov_b32 ttmp2, m0
	s_waitcnt lgkmcnt(0)
	s_and_b32 s0, s0, 0x3ff
	s_delay_alu instid0(SALU_CYCLE_1) | instskip(NEXT) | instid1(SALU_CYCLE_1)
	s_bitset1_b32 s0, 10
	s_mov_b32 m0, s0
	s_sendmsg sendmsg(MSG_INTERRUPT)
	s_mov_b32 m0, ttmp2
.LBB2_1712:                             ; =>This Inner Loop Header: Depth=1
	s_sethalt 5
	s_branch .LBB2_1712
.LBB2_1713:
	s_trap 2
	s_sendmsg_rtn_b32 s0, sendmsg(MSG_RTN_GET_DOORBELL)
	s_mov_b32 ttmp2, m0
	s_waitcnt lgkmcnt(0)
	s_and_b32 s0, s0, 0x3ff
	s_delay_alu instid0(SALU_CYCLE_1) | instskip(NEXT) | instid1(SALU_CYCLE_1)
	s_bitset1_b32 s0, 10
	s_mov_b32 m0, s0
	s_sendmsg sendmsg(MSG_INTERRUPT)
	s_mov_b32 m0, ttmp2
.LBB2_1714:                             ; =>This Inner Loop Header: Depth=1
	s_sethalt 5
	s_branch .LBB2_1714
.LBB2_1715:
	s_trap 2
	s_sendmsg_rtn_b32 s0, sendmsg(MSG_RTN_GET_DOORBELL)
	s_mov_b32 ttmp2, m0
	s_waitcnt lgkmcnt(0)
	s_and_b32 s0, s0, 0x3ff
	s_delay_alu instid0(SALU_CYCLE_1) | instskip(NEXT) | instid1(SALU_CYCLE_1)
	s_bitset1_b32 s0, 10
	s_mov_b32 m0, s0
	s_sendmsg sendmsg(MSG_INTERRUPT)
	s_mov_b32 m0, ttmp2
.LBB2_1716:                             ; =>This Inner Loop Header: Depth=1
	s_sethalt 5
	s_branch .LBB2_1716
.LBB2_1717:
	s_trap 2
	s_sendmsg_rtn_b32 s0, sendmsg(MSG_RTN_GET_DOORBELL)
	s_mov_b32 ttmp2, m0
	s_waitcnt lgkmcnt(0)
	s_and_b32 s0, s0, 0x3ff
	s_delay_alu instid0(SALU_CYCLE_1) | instskip(NEXT) | instid1(SALU_CYCLE_1)
	s_bitset1_b32 s0, 10
	s_mov_b32 m0, s0
	s_sendmsg sendmsg(MSG_INTERRUPT)
	s_mov_b32 m0, ttmp2
.LBB2_1718:                             ; =>This Inner Loop Header: Depth=1
	s_sethalt 5
	s_branch .LBB2_1718
.LBB2_1719:
	s_trap 2
	s_sendmsg_rtn_b32 s0, sendmsg(MSG_RTN_GET_DOORBELL)
	s_mov_b32 ttmp2, m0
	s_waitcnt lgkmcnt(0)
	s_and_b32 s0, s0, 0x3ff
	s_delay_alu instid0(SALU_CYCLE_1) | instskip(NEXT) | instid1(SALU_CYCLE_1)
	s_bitset1_b32 s0, 10
	s_mov_b32 m0, s0
	s_sendmsg sendmsg(MSG_INTERRUPT)
	s_mov_b32 m0, ttmp2
.LBB2_1720:                             ; =>This Inner Loop Header: Depth=1
	s_sethalt 5
	s_branch .LBB2_1720
.LBB2_1721:
	s_trap 2
	s_sendmsg_rtn_b32 s0, sendmsg(MSG_RTN_GET_DOORBELL)
	s_mov_b32 ttmp2, m0
	s_waitcnt lgkmcnt(0)
	s_and_b32 s0, s0, 0x3ff
	s_delay_alu instid0(SALU_CYCLE_1) | instskip(NEXT) | instid1(SALU_CYCLE_1)
	s_bitset1_b32 s0, 10
	s_mov_b32 m0, s0
	s_sendmsg sendmsg(MSG_INTERRUPT)
	s_mov_b32 m0, ttmp2
.LBB2_1722:                             ; =>This Inner Loop Header: Depth=1
	s_sethalt 5
	s_branch .LBB2_1722
.LBB2_1723:
	s_trap 2
	s_sendmsg_rtn_b32 s0, sendmsg(MSG_RTN_GET_DOORBELL)
	s_mov_b32 ttmp2, m0
	s_waitcnt lgkmcnt(0)
	s_and_b32 s0, s0, 0x3ff
	s_delay_alu instid0(SALU_CYCLE_1) | instskip(NEXT) | instid1(SALU_CYCLE_1)
	s_bitset1_b32 s0, 10
	s_mov_b32 m0, s0
	s_sendmsg sendmsg(MSG_INTERRUPT)
	s_mov_b32 m0, ttmp2
.LBB2_1724:                             ; =>This Inner Loop Header: Depth=1
	s_sethalt 5
	s_branch .LBB2_1724
.LBB2_1725:
	s_trap 2
	s_sendmsg_rtn_b32 s0, sendmsg(MSG_RTN_GET_DOORBELL)
	s_mov_b32 ttmp2, m0
	s_waitcnt lgkmcnt(0)
	s_and_b32 s0, s0, 0x3ff
	s_delay_alu instid0(SALU_CYCLE_1) | instskip(NEXT) | instid1(SALU_CYCLE_1)
	s_bitset1_b32 s0, 10
	s_mov_b32 m0, s0
	s_sendmsg sendmsg(MSG_INTERRUPT)
	s_mov_b32 m0, ttmp2
.LBB2_1726:                             ; =>This Inner Loop Header: Depth=1
	s_sethalt 5
	s_branch .LBB2_1726
.LBB2_1727:
	s_trap 2
	s_sendmsg_rtn_b32 s0, sendmsg(MSG_RTN_GET_DOORBELL)
	s_mov_b32 ttmp2, m0
	s_waitcnt lgkmcnt(0)
	s_and_b32 s0, s0, 0x3ff
	s_delay_alu instid0(SALU_CYCLE_1) | instskip(NEXT) | instid1(SALU_CYCLE_1)
	s_bitset1_b32 s0, 10
	s_mov_b32 m0, s0
	s_sendmsg sendmsg(MSG_INTERRUPT)
	s_mov_b32 m0, ttmp2
.LBB2_1728:                             ; =>This Inner Loop Header: Depth=1
	s_sethalt 5
	s_branch .LBB2_1728
.LBB2_1729:
	s_trap 2
	s_sendmsg_rtn_b32 s0, sendmsg(MSG_RTN_GET_DOORBELL)
	s_mov_b32 ttmp2, m0
	s_waitcnt lgkmcnt(0)
	s_and_b32 s0, s0, 0x3ff
	s_delay_alu instid0(SALU_CYCLE_1) | instskip(NEXT) | instid1(SALU_CYCLE_1)
	s_bitset1_b32 s0, 10
	s_mov_b32 m0, s0
	s_sendmsg sendmsg(MSG_INTERRUPT)
	s_mov_b32 m0, ttmp2
.LBB2_1730:                             ; =>This Inner Loop Header: Depth=1
	s_sethalt 5
	s_branch .LBB2_1730
.LBB2_1731:
	s_trap 2
	s_sendmsg_rtn_b32 s0, sendmsg(MSG_RTN_GET_DOORBELL)
	s_mov_b32 ttmp2, m0
	s_waitcnt lgkmcnt(0)
	s_and_b32 s0, s0, 0x3ff
	s_delay_alu instid0(SALU_CYCLE_1) | instskip(NEXT) | instid1(SALU_CYCLE_1)
	s_bitset1_b32 s0, 10
	s_mov_b32 m0, s0
	s_sendmsg sendmsg(MSG_INTERRUPT)
	s_mov_b32 m0, ttmp2
.LBB2_1732:                             ; =>This Inner Loop Header: Depth=1
	s_sethalt 5
	s_branch .LBB2_1732
.LBB2_1733:
	s_trap 2
	s_sendmsg_rtn_b32 s0, sendmsg(MSG_RTN_GET_DOORBELL)
	s_mov_b32 ttmp2, m0
	s_waitcnt lgkmcnt(0)
	s_and_b32 s0, s0, 0x3ff
	s_delay_alu instid0(SALU_CYCLE_1) | instskip(NEXT) | instid1(SALU_CYCLE_1)
	s_bitset1_b32 s0, 10
	s_mov_b32 m0, s0
	s_sendmsg sendmsg(MSG_INTERRUPT)
	s_mov_b32 m0, ttmp2
.LBB2_1734:                             ; =>This Inner Loop Header: Depth=1
	s_sethalt 5
	s_branch .LBB2_1734
.LBB2_1735:
	s_trap 2
	s_sendmsg_rtn_b32 s0, sendmsg(MSG_RTN_GET_DOORBELL)
	s_mov_b32 ttmp2, m0
	s_waitcnt lgkmcnt(0)
	s_and_b32 s0, s0, 0x3ff
	s_delay_alu instid0(SALU_CYCLE_1) | instskip(NEXT) | instid1(SALU_CYCLE_1)
	s_bitset1_b32 s0, 10
	s_mov_b32 m0, s0
	s_sendmsg sendmsg(MSG_INTERRUPT)
	s_mov_b32 m0, ttmp2
.LBB2_1736:                             ; =>This Inner Loop Header: Depth=1
	s_sethalt 5
	s_branch .LBB2_1736
.LBB2_1737:
	s_trap 2
	s_sendmsg_rtn_b32 s0, sendmsg(MSG_RTN_GET_DOORBELL)
	s_mov_b32 ttmp2, m0
	s_waitcnt lgkmcnt(0)
	s_and_b32 s0, s0, 0x3ff
	s_delay_alu instid0(SALU_CYCLE_1) | instskip(NEXT) | instid1(SALU_CYCLE_1)
	s_bitset1_b32 s0, 10
	s_mov_b32 m0, s0
	s_sendmsg sendmsg(MSG_INTERRUPT)
	s_mov_b32 m0, ttmp2
.LBB2_1738:                             ; =>This Inner Loop Header: Depth=1
	s_sethalt 5
	s_branch .LBB2_1738
.LBB2_1739:
	s_trap 2
	s_sendmsg_rtn_b32 s0, sendmsg(MSG_RTN_GET_DOORBELL)
	s_mov_b32 ttmp2, m0
	s_waitcnt lgkmcnt(0)
	s_and_b32 s0, s0, 0x3ff
	s_delay_alu instid0(SALU_CYCLE_1) | instskip(NEXT) | instid1(SALU_CYCLE_1)
	s_bitset1_b32 s0, 10
	s_mov_b32 m0, s0
	s_sendmsg sendmsg(MSG_INTERRUPT)
	s_mov_b32 m0, ttmp2
.LBB2_1740:                             ; =>This Inner Loop Header: Depth=1
	s_sethalt 5
	s_branch .LBB2_1740
.LBB2_1741:
	s_trap 2
	s_sendmsg_rtn_b32 s0, sendmsg(MSG_RTN_GET_DOORBELL)
	s_mov_b32 ttmp2, m0
	s_waitcnt lgkmcnt(0)
	s_and_b32 s0, s0, 0x3ff
	s_delay_alu instid0(SALU_CYCLE_1) | instskip(NEXT) | instid1(SALU_CYCLE_1)
	s_bitset1_b32 s0, 10
	s_mov_b32 m0, s0
	s_sendmsg sendmsg(MSG_INTERRUPT)
	s_mov_b32 m0, ttmp2
.LBB2_1742:                             ; =>This Inner Loop Header: Depth=1
	s_sethalt 5
	s_branch .LBB2_1742
.LBB2_1743:
	s_trap 2
	s_sendmsg_rtn_b32 s0, sendmsg(MSG_RTN_GET_DOORBELL)
	s_mov_b32 ttmp2, m0
	s_waitcnt lgkmcnt(0)
	s_and_b32 s0, s0, 0x3ff
	s_delay_alu instid0(SALU_CYCLE_1) | instskip(NEXT) | instid1(SALU_CYCLE_1)
	s_bitset1_b32 s0, 10
	s_mov_b32 m0, s0
	s_sendmsg sendmsg(MSG_INTERRUPT)
	s_mov_b32 m0, ttmp2
.LBB2_1744:                             ; =>This Inner Loop Header: Depth=1
	s_sethalt 5
	s_branch .LBB2_1744
.LBB2_1745:
	s_trap 2
	s_sendmsg_rtn_b32 s0, sendmsg(MSG_RTN_GET_DOORBELL)
	s_mov_b32 ttmp2, m0
	s_waitcnt lgkmcnt(0)
	s_and_b32 s0, s0, 0x3ff
	s_delay_alu instid0(SALU_CYCLE_1) | instskip(NEXT) | instid1(SALU_CYCLE_1)
	s_bitset1_b32 s0, 10
	s_mov_b32 m0, s0
	s_sendmsg sendmsg(MSG_INTERRUPT)
	s_mov_b32 m0, ttmp2
.LBB2_1746:                             ; =>This Inner Loop Header: Depth=1
	s_sethalt 5
	s_branch .LBB2_1746
.LBB2_1747:
	s_trap 2
	s_sendmsg_rtn_b32 s0, sendmsg(MSG_RTN_GET_DOORBELL)
	s_mov_b32 ttmp2, m0
	s_waitcnt lgkmcnt(0)
	s_and_b32 s0, s0, 0x3ff
	s_delay_alu instid0(SALU_CYCLE_1) | instskip(NEXT) | instid1(SALU_CYCLE_1)
	s_bitset1_b32 s0, 10
	s_mov_b32 m0, s0
	s_sendmsg sendmsg(MSG_INTERRUPT)
	s_mov_b32 m0, ttmp2
.LBB2_1748:                             ; =>This Inner Loop Header: Depth=1
	s_sethalt 5
	s_branch .LBB2_1748
.LBB2_1749:
	s_trap 2
	s_sendmsg_rtn_b32 s0, sendmsg(MSG_RTN_GET_DOORBELL)
	s_mov_b32 ttmp2, m0
	s_waitcnt lgkmcnt(0)
	s_and_b32 s0, s0, 0x3ff
	s_delay_alu instid0(SALU_CYCLE_1) | instskip(NEXT) | instid1(SALU_CYCLE_1)
	s_bitset1_b32 s0, 10
	s_mov_b32 m0, s0
	s_sendmsg sendmsg(MSG_INTERRUPT)
	s_mov_b32 m0, ttmp2
.LBB2_1750:                             ; =>This Inner Loop Header: Depth=1
	s_sethalt 5
	s_branch .LBB2_1750
.LBB2_1751:
	s_trap 2
	s_sendmsg_rtn_b32 s0, sendmsg(MSG_RTN_GET_DOORBELL)
	s_mov_b32 ttmp2, m0
	s_waitcnt lgkmcnt(0)
	s_and_b32 s0, s0, 0x3ff
	s_delay_alu instid0(SALU_CYCLE_1) | instskip(NEXT) | instid1(SALU_CYCLE_1)
	s_bitset1_b32 s0, 10
	s_mov_b32 m0, s0
	s_sendmsg sendmsg(MSG_INTERRUPT)
	s_mov_b32 m0, ttmp2
.LBB2_1752:                             ; =>This Inner Loop Header: Depth=1
	s_sethalt 5
	s_branch .LBB2_1752
.LBB2_1753:
	s_trap 2
	s_sendmsg_rtn_b32 s0, sendmsg(MSG_RTN_GET_DOORBELL)
	s_mov_b32 ttmp2, m0
	s_waitcnt lgkmcnt(0)
	s_and_b32 s0, s0, 0x3ff
	s_delay_alu instid0(SALU_CYCLE_1) | instskip(NEXT) | instid1(SALU_CYCLE_1)
	s_bitset1_b32 s0, 10
	s_mov_b32 m0, s0
	s_sendmsg sendmsg(MSG_INTERRUPT)
	s_mov_b32 m0, ttmp2
.LBB2_1754:                             ; =>This Inner Loop Header: Depth=1
	s_sethalt 5
	s_branch .LBB2_1754
.LBB2_1755:
	s_trap 2
	s_sendmsg_rtn_b32 s0, sendmsg(MSG_RTN_GET_DOORBELL)
	s_mov_b32 ttmp2, m0
	s_waitcnt lgkmcnt(0)
	s_and_b32 s0, s0, 0x3ff
	s_delay_alu instid0(SALU_CYCLE_1) | instskip(NEXT) | instid1(SALU_CYCLE_1)
	s_bitset1_b32 s0, 10
	s_mov_b32 m0, s0
	s_sendmsg sendmsg(MSG_INTERRUPT)
	s_mov_b32 m0, ttmp2
.LBB2_1756:                             ; =>This Inner Loop Header: Depth=1
	s_sethalt 5
	s_branch .LBB2_1756
.LBB2_1757:
	s_trap 2
	s_sendmsg_rtn_b32 s0, sendmsg(MSG_RTN_GET_DOORBELL)
	s_mov_b32 ttmp2, m0
	s_waitcnt lgkmcnt(0)
	s_and_b32 s0, s0, 0x3ff
	s_delay_alu instid0(SALU_CYCLE_1) | instskip(NEXT) | instid1(SALU_CYCLE_1)
	s_bitset1_b32 s0, 10
	s_mov_b32 m0, s0
	s_sendmsg sendmsg(MSG_INTERRUPT)
	s_mov_b32 m0, ttmp2
.LBB2_1758:                             ; =>This Inner Loop Header: Depth=1
	s_sethalt 5
	s_branch .LBB2_1758
.LBB2_1759:
	s_trap 2
	s_sendmsg_rtn_b32 s0, sendmsg(MSG_RTN_GET_DOORBELL)
	s_mov_b32 ttmp2, m0
	s_waitcnt lgkmcnt(0)
	s_and_b32 s0, s0, 0x3ff
	s_delay_alu instid0(SALU_CYCLE_1) | instskip(NEXT) | instid1(SALU_CYCLE_1)
	s_bitset1_b32 s0, 10
	s_mov_b32 m0, s0
	s_sendmsg sendmsg(MSG_INTERRUPT)
	s_mov_b32 m0, ttmp2
.LBB2_1760:                             ; =>This Inner Loop Header: Depth=1
	s_sethalt 5
	s_branch .LBB2_1760
.LBB2_1761:
	s_trap 2
	s_sendmsg_rtn_b32 s0, sendmsg(MSG_RTN_GET_DOORBELL)
	s_mov_b32 ttmp2, m0
	s_waitcnt lgkmcnt(0)
	s_and_b32 s0, s0, 0x3ff
	s_delay_alu instid0(SALU_CYCLE_1) | instskip(NEXT) | instid1(SALU_CYCLE_1)
	s_bitset1_b32 s0, 10
	s_mov_b32 m0, s0
	s_sendmsg sendmsg(MSG_INTERRUPT)
	s_mov_b32 m0, ttmp2
.LBB2_1762:                             ; =>This Inner Loop Header: Depth=1
	s_sethalt 5
	s_branch .LBB2_1762
.LBB2_1763:
	s_trap 2
	s_sendmsg_rtn_b32 s0, sendmsg(MSG_RTN_GET_DOORBELL)
	s_mov_b32 ttmp2, m0
	s_waitcnt lgkmcnt(0)
	s_and_b32 s0, s0, 0x3ff
	s_delay_alu instid0(SALU_CYCLE_1) | instskip(NEXT) | instid1(SALU_CYCLE_1)
	s_bitset1_b32 s0, 10
	s_mov_b32 m0, s0
	s_sendmsg sendmsg(MSG_INTERRUPT)
	s_mov_b32 m0, ttmp2
.LBB2_1764:                             ; =>This Inner Loop Header: Depth=1
	s_sethalt 5
	s_branch .LBB2_1764
.LBB2_1765:
	s_trap 2
	s_sendmsg_rtn_b32 s0, sendmsg(MSG_RTN_GET_DOORBELL)
	s_mov_b32 ttmp2, m0
	s_waitcnt lgkmcnt(0)
	s_and_b32 s0, s0, 0x3ff
	s_delay_alu instid0(SALU_CYCLE_1) | instskip(NEXT) | instid1(SALU_CYCLE_1)
	s_bitset1_b32 s0, 10
	s_mov_b32 m0, s0
	s_sendmsg sendmsg(MSG_INTERRUPT)
	s_mov_b32 m0, ttmp2
.LBB2_1766:                             ; =>This Inner Loop Header: Depth=1
	s_sethalt 5
	s_branch .LBB2_1766
.LBB2_1767:
	s_trap 2
	s_sendmsg_rtn_b32 s0, sendmsg(MSG_RTN_GET_DOORBELL)
	s_mov_b32 ttmp2, m0
	s_waitcnt lgkmcnt(0)
	s_and_b32 s0, s0, 0x3ff
	s_delay_alu instid0(SALU_CYCLE_1) | instskip(NEXT) | instid1(SALU_CYCLE_1)
	s_bitset1_b32 s0, 10
	s_mov_b32 m0, s0
	s_sendmsg sendmsg(MSG_INTERRUPT)
	s_mov_b32 m0, ttmp2
.LBB2_1768:                             ; =>This Inner Loop Header: Depth=1
	s_sethalt 5
	s_branch .LBB2_1768
.LBB2_1769:
	s_trap 2
	s_sendmsg_rtn_b32 s0, sendmsg(MSG_RTN_GET_DOORBELL)
	s_mov_b32 ttmp2, m0
	s_waitcnt lgkmcnt(0)
	s_and_b32 s0, s0, 0x3ff
	s_delay_alu instid0(SALU_CYCLE_1) | instskip(NEXT) | instid1(SALU_CYCLE_1)
	s_bitset1_b32 s0, 10
	s_mov_b32 m0, s0
	s_sendmsg sendmsg(MSG_INTERRUPT)
	s_mov_b32 m0, ttmp2
.LBB2_1770:                             ; =>This Inner Loop Header: Depth=1
	s_sethalt 5
	s_branch .LBB2_1770
.LBB2_1771:
	s_trap 2
	s_sendmsg_rtn_b32 s0, sendmsg(MSG_RTN_GET_DOORBELL)
	s_mov_b32 ttmp2, m0
	s_waitcnt lgkmcnt(0)
	s_and_b32 s0, s0, 0x3ff
	s_delay_alu instid0(SALU_CYCLE_1) | instskip(NEXT) | instid1(SALU_CYCLE_1)
	s_bitset1_b32 s0, 10
	s_mov_b32 m0, s0
	s_sendmsg sendmsg(MSG_INTERRUPT)
	s_mov_b32 m0, ttmp2
.LBB2_1772:                             ; =>This Inner Loop Header: Depth=1
	s_sethalt 5
	s_branch .LBB2_1772
.LBB2_1773:
	s_trap 2
	s_sendmsg_rtn_b32 s0, sendmsg(MSG_RTN_GET_DOORBELL)
	s_mov_b32 ttmp2, m0
	s_waitcnt lgkmcnt(0)
	s_and_b32 s0, s0, 0x3ff
	s_delay_alu instid0(SALU_CYCLE_1) | instskip(NEXT) | instid1(SALU_CYCLE_1)
	s_bitset1_b32 s0, 10
	s_mov_b32 m0, s0
	s_sendmsg sendmsg(MSG_INTERRUPT)
	s_mov_b32 m0, ttmp2
.LBB2_1774:                             ; =>This Inner Loop Header: Depth=1
	s_sethalt 5
	s_branch .LBB2_1774
.LBB2_1775:
	s_trap 2
	s_sendmsg_rtn_b32 s0, sendmsg(MSG_RTN_GET_DOORBELL)
	s_mov_b32 ttmp2, m0
	s_waitcnt lgkmcnt(0)
	s_and_b32 s0, s0, 0x3ff
	s_delay_alu instid0(SALU_CYCLE_1) | instskip(NEXT) | instid1(SALU_CYCLE_1)
	s_bitset1_b32 s0, 10
	s_mov_b32 m0, s0
	s_sendmsg sendmsg(MSG_INTERRUPT)
	s_mov_b32 m0, ttmp2
.LBB2_1776:                             ; =>This Inner Loop Header: Depth=1
	s_sethalt 5
	s_branch .LBB2_1776
.LBB2_1777:
	s_trap 2
	s_sendmsg_rtn_b32 s0, sendmsg(MSG_RTN_GET_DOORBELL)
	s_mov_b32 ttmp2, m0
	s_waitcnt lgkmcnt(0)
	s_and_b32 s0, s0, 0x3ff
	s_delay_alu instid0(SALU_CYCLE_1) | instskip(NEXT) | instid1(SALU_CYCLE_1)
	s_bitset1_b32 s0, 10
	s_mov_b32 m0, s0
	s_sendmsg sendmsg(MSG_INTERRUPT)
	s_mov_b32 m0, ttmp2
.LBB2_1778:                             ; =>This Inner Loop Header: Depth=1
	s_sethalt 5
	s_branch .LBB2_1778
.LBB2_1779:
	s_trap 2
	s_sendmsg_rtn_b32 s0, sendmsg(MSG_RTN_GET_DOORBELL)
	s_mov_b32 ttmp2, m0
	s_waitcnt lgkmcnt(0)
	s_and_b32 s0, s0, 0x3ff
	s_delay_alu instid0(SALU_CYCLE_1) | instskip(NEXT) | instid1(SALU_CYCLE_1)
	s_bitset1_b32 s0, 10
	s_mov_b32 m0, s0
	s_sendmsg sendmsg(MSG_INTERRUPT)
	s_mov_b32 m0, ttmp2
.LBB2_1780:                             ; =>This Inner Loop Header: Depth=1
	s_sethalt 5
	s_branch .LBB2_1780
.LBB2_1781:
	s_trap 2
	s_sendmsg_rtn_b32 s0, sendmsg(MSG_RTN_GET_DOORBELL)
	s_mov_b32 ttmp2, m0
	s_waitcnt lgkmcnt(0)
	s_and_b32 s0, s0, 0x3ff
	s_delay_alu instid0(SALU_CYCLE_1) | instskip(NEXT) | instid1(SALU_CYCLE_1)
	s_bitset1_b32 s0, 10
	s_mov_b32 m0, s0
	s_sendmsg sendmsg(MSG_INTERRUPT)
	s_mov_b32 m0, ttmp2
.LBB2_1782:                             ; =>This Inner Loop Header: Depth=1
	s_sethalt 5
	s_branch .LBB2_1782
.LBB2_1783:
	s_trap 2
	s_sendmsg_rtn_b32 s0, sendmsg(MSG_RTN_GET_DOORBELL)
	s_mov_b32 ttmp2, m0
	s_waitcnt lgkmcnt(0)
	s_and_b32 s0, s0, 0x3ff
	s_delay_alu instid0(SALU_CYCLE_1) | instskip(NEXT) | instid1(SALU_CYCLE_1)
	s_bitset1_b32 s0, 10
	s_mov_b32 m0, s0
	s_sendmsg sendmsg(MSG_INTERRUPT)
	s_mov_b32 m0, ttmp2
.LBB2_1784:                             ; =>This Inner Loop Header: Depth=1
	s_sethalt 5
	s_branch .LBB2_1784
.LBB2_1785:
	s_trap 2
	s_sendmsg_rtn_b32 s0, sendmsg(MSG_RTN_GET_DOORBELL)
	s_mov_b32 ttmp2, m0
	s_waitcnt lgkmcnt(0)
	s_and_b32 s0, s0, 0x3ff
	s_delay_alu instid0(SALU_CYCLE_1) | instskip(NEXT) | instid1(SALU_CYCLE_1)
	s_bitset1_b32 s0, 10
	s_mov_b32 m0, s0
	s_sendmsg sendmsg(MSG_INTERRUPT)
	s_mov_b32 m0, ttmp2
.LBB2_1786:                             ; =>This Inner Loop Header: Depth=1
	s_sethalt 5
	s_branch .LBB2_1786
.LBB2_1787:
	s_trap 2
	s_sendmsg_rtn_b32 s0, sendmsg(MSG_RTN_GET_DOORBELL)
	s_mov_b32 ttmp2, m0
	s_waitcnt lgkmcnt(0)
	s_and_b32 s0, s0, 0x3ff
	s_delay_alu instid0(SALU_CYCLE_1) | instskip(NEXT) | instid1(SALU_CYCLE_1)
	s_bitset1_b32 s0, 10
	s_mov_b32 m0, s0
	s_sendmsg sendmsg(MSG_INTERRUPT)
	s_mov_b32 m0, ttmp2
.LBB2_1788:                             ; =>This Inner Loop Header: Depth=1
	s_sethalt 5
	s_branch .LBB2_1788
.LBB2_1789:
	s_trap 2
	s_sendmsg_rtn_b32 s0, sendmsg(MSG_RTN_GET_DOORBELL)
	s_mov_b32 ttmp2, m0
	s_waitcnt lgkmcnt(0)
	s_and_b32 s0, s0, 0x3ff
	s_delay_alu instid0(SALU_CYCLE_1) | instskip(NEXT) | instid1(SALU_CYCLE_1)
	s_bitset1_b32 s0, 10
	s_mov_b32 m0, s0
	s_sendmsg sendmsg(MSG_INTERRUPT)
	s_mov_b32 m0, ttmp2
.LBB2_1790:                             ; =>This Inner Loop Header: Depth=1
	s_sethalt 5
	s_branch .LBB2_1790
.LBB2_1791:
	s_trap 2
	s_sendmsg_rtn_b32 s0, sendmsg(MSG_RTN_GET_DOORBELL)
	s_mov_b32 ttmp2, m0
	s_waitcnt lgkmcnt(0)
	s_and_b32 s0, s0, 0x3ff
	s_delay_alu instid0(SALU_CYCLE_1) | instskip(NEXT) | instid1(SALU_CYCLE_1)
	s_bitset1_b32 s0, 10
	s_mov_b32 m0, s0
	s_sendmsg sendmsg(MSG_INTERRUPT)
	s_mov_b32 m0, ttmp2
.LBB2_1792:                             ; =>This Inner Loop Header: Depth=1
	s_sethalt 5
	s_branch .LBB2_1792
.LBB2_1793:
	s_trap 2
	s_sendmsg_rtn_b32 s0, sendmsg(MSG_RTN_GET_DOORBELL)
	s_mov_b32 ttmp2, m0
	s_waitcnt lgkmcnt(0)
	s_and_b32 s0, s0, 0x3ff
	s_delay_alu instid0(SALU_CYCLE_1) | instskip(NEXT) | instid1(SALU_CYCLE_1)
	s_bitset1_b32 s0, 10
	s_mov_b32 m0, s0
	s_sendmsg sendmsg(MSG_INTERRUPT)
	s_mov_b32 m0, ttmp2
.LBB2_1794:                             ; =>This Inner Loop Header: Depth=1
	s_sethalt 5
	s_branch .LBB2_1794
.LBB2_1795:
	s_trap 2
	s_sendmsg_rtn_b32 s0, sendmsg(MSG_RTN_GET_DOORBELL)
	s_mov_b32 ttmp2, m0
	s_waitcnt lgkmcnt(0)
	s_and_b32 s0, s0, 0x3ff
	s_delay_alu instid0(SALU_CYCLE_1) | instskip(NEXT) | instid1(SALU_CYCLE_1)
	s_bitset1_b32 s0, 10
	s_mov_b32 m0, s0
	s_sendmsg sendmsg(MSG_INTERRUPT)
	s_mov_b32 m0, ttmp2
.LBB2_1796:                             ; =>This Inner Loop Header: Depth=1
	s_sethalt 5
	s_branch .LBB2_1796
.LBB2_1797:
	s_trap 2
	s_sendmsg_rtn_b32 s0, sendmsg(MSG_RTN_GET_DOORBELL)
	s_mov_b32 ttmp2, m0
	s_waitcnt lgkmcnt(0)
	s_and_b32 s0, s0, 0x3ff
	s_delay_alu instid0(SALU_CYCLE_1) | instskip(NEXT) | instid1(SALU_CYCLE_1)
	s_bitset1_b32 s0, 10
	s_mov_b32 m0, s0
	s_sendmsg sendmsg(MSG_INTERRUPT)
	s_mov_b32 m0, ttmp2
.LBB2_1798:                             ; =>This Inner Loop Header: Depth=1
	s_sethalt 5
	s_branch .LBB2_1798
.LBB2_1799:
	s_trap 2
	s_sendmsg_rtn_b32 s0, sendmsg(MSG_RTN_GET_DOORBELL)
	s_mov_b32 ttmp2, m0
	s_waitcnt lgkmcnt(0)
	s_and_b32 s0, s0, 0x3ff
	s_delay_alu instid0(SALU_CYCLE_1) | instskip(NEXT) | instid1(SALU_CYCLE_1)
	s_bitset1_b32 s0, 10
	s_mov_b32 m0, s0
	s_sendmsg sendmsg(MSG_INTERRUPT)
	s_mov_b32 m0, ttmp2
.LBB2_1800:                             ; =>This Inner Loop Header: Depth=1
	s_sethalt 5
	s_branch .LBB2_1800
.LBB2_1801:
	s_trap 2
	s_sendmsg_rtn_b32 s0, sendmsg(MSG_RTN_GET_DOORBELL)
	s_mov_b32 ttmp2, m0
	s_waitcnt lgkmcnt(0)
	s_and_b32 s0, s0, 0x3ff
	s_delay_alu instid0(SALU_CYCLE_1) | instskip(NEXT) | instid1(SALU_CYCLE_1)
	s_bitset1_b32 s0, 10
	s_mov_b32 m0, s0
	s_sendmsg sendmsg(MSG_INTERRUPT)
	s_mov_b32 m0, ttmp2
.LBB2_1802:                             ; =>This Inner Loop Header: Depth=1
	s_sethalt 5
	s_branch .LBB2_1802
.LBB2_1803:
	s_trap 2
	s_sendmsg_rtn_b32 s0, sendmsg(MSG_RTN_GET_DOORBELL)
	s_mov_b32 ttmp2, m0
	s_waitcnt lgkmcnt(0)
	s_and_b32 s0, s0, 0x3ff
	s_delay_alu instid0(SALU_CYCLE_1) | instskip(NEXT) | instid1(SALU_CYCLE_1)
	s_bitset1_b32 s0, 10
	s_mov_b32 m0, s0
	s_sendmsg sendmsg(MSG_INTERRUPT)
	s_mov_b32 m0, ttmp2
.LBB2_1804:                             ; =>This Inner Loop Header: Depth=1
	s_sethalt 5
	s_branch .LBB2_1804
.LBB2_1805:
	s_trap 2
	s_sendmsg_rtn_b32 s0, sendmsg(MSG_RTN_GET_DOORBELL)
	s_mov_b32 ttmp2, m0
	s_waitcnt lgkmcnt(0)
	s_and_b32 s0, s0, 0x3ff
	s_delay_alu instid0(SALU_CYCLE_1) | instskip(NEXT) | instid1(SALU_CYCLE_1)
	s_bitset1_b32 s0, 10
	s_mov_b32 m0, s0
	s_sendmsg sendmsg(MSG_INTERRUPT)
	s_mov_b32 m0, ttmp2
.LBB2_1806:                             ; =>This Inner Loop Header: Depth=1
	s_sethalt 5
	s_branch .LBB2_1806
.LBB2_1807:
	s_trap 2
	s_sendmsg_rtn_b32 s0, sendmsg(MSG_RTN_GET_DOORBELL)
	s_mov_b32 ttmp2, m0
	s_waitcnt lgkmcnt(0)
	s_and_b32 s0, s0, 0x3ff
	s_delay_alu instid0(SALU_CYCLE_1) | instskip(NEXT) | instid1(SALU_CYCLE_1)
	s_bitset1_b32 s0, 10
	s_mov_b32 m0, s0
	s_sendmsg sendmsg(MSG_INTERRUPT)
	s_mov_b32 m0, ttmp2
.LBB2_1808:                             ; =>This Inner Loop Header: Depth=1
	s_sethalt 5
	s_branch .LBB2_1808
.LBB2_1809:
	s_trap 2
	s_sendmsg_rtn_b32 s0, sendmsg(MSG_RTN_GET_DOORBELL)
	s_mov_b32 ttmp2, m0
	s_waitcnt lgkmcnt(0)
	s_and_b32 s0, s0, 0x3ff
	s_delay_alu instid0(SALU_CYCLE_1) | instskip(NEXT) | instid1(SALU_CYCLE_1)
	s_bitset1_b32 s0, 10
	s_mov_b32 m0, s0
	s_sendmsg sendmsg(MSG_INTERRUPT)
	s_mov_b32 m0, ttmp2
.LBB2_1810:                             ; =>This Inner Loop Header: Depth=1
	s_sethalt 5
	s_branch .LBB2_1810
.LBB2_1811:
	s_trap 2
	s_sendmsg_rtn_b32 s0, sendmsg(MSG_RTN_GET_DOORBELL)
	s_mov_b32 ttmp2, m0
	s_waitcnt lgkmcnt(0)
	s_and_b32 s0, s0, 0x3ff
	s_delay_alu instid0(SALU_CYCLE_1) | instskip(NEXT) | instid1(SALU_CYCLE_1)
	s_bitset1_b32 s0, 10
	s_mov_b32 m0, s0
	s_sendmsg sendmsg(MSG_INTERRUPT)
	s_mov_b32 m0, ttmp2
.LBB2_1812:                             ; =>This Inner Loop Header: Depth=1
	s_sethalt 5
	s_branch .LBB2_1812
.LBB2_1813:
	s_trap 2
	s_sendmsg_rtn_b32 s0, sendmsg(MSG_RTN_GET_DOORBELL)
	s_mov_b32 ttmp2, m0
	s_waitcnt lgkmcnt(0)
	s_and_b32 s0, s0, 0x3ff
	s_delay_alu instid0(SALU_CYCLE_1) | instskip(NEXT) | instid1(SALU_CYCLE_1)
	s_bitset1_b32 s0, 10
	s_mov_b32 m0, s0
	s_sendmsg sendmsg(MSG_INTERRUPT)
	s_mov_b32 m0, ttmp2
.LBB2_1814:                             ; =>This Inner Loop Header: Depth=1
	s_sethalt 5
	s_branch .LBB2_1814
.LBB2_1815:
	s_trap 2
	s_sendmsg_rtn_b32 s0, sendmsg(MSG_RTN_GET_DOORBELL)
	s_mov_b32 ttmp2, m0
	s_waitcnt lgkmcnt(0)
	s_and_b32 s0, s0, 0x3ff
	s_delay_alu instid0(SALU_CYCLE_1) | instskip(NEXT) | instid1(SALU_CYCLE_1)
	s_bitset1_b32 s0, 10
	s_mov_b32 m0, s0
	s_sendmsg sendmsg(MSG_INTERRUPT)
	s_mov_b32 m0, ttmp2
.LBB2_1816:                             ; =>This Inner Loop Header: Depth=1
	s_sethalt 5
	s_branch .LBB2_1816
.LBB2_1817:
	s_trap 2
	s_sendmsg_rtn_b32 s0, sendmsg(MSG_RTN_GET_DOORBELL)
	s_mov_b32 ttmp2, m0
	s_waitcnt lgkmcnt(0)
	s_and_b32 s0, s0, 0x3ff
	s_delay_alu instid0(SALU_CYCLE_1) | instskip(NEXT) | instid1(SALU_CYCLE_1)
	s_bitset1_b32 s0, 10
	s_mov_b32 m0, s0
	s_sendmsg sendmsg(MSG_INTERRUPT)
	s_mov_b32 m0, ttmp2
.LBB2_1818:                             ; =>This Inner Loop Header: Depth=1
	s_sethalt 5
	s_branch .LBB2_1818
.LBB2_1819:
	s_trap 2
	s_sendmsg_rtn_b32 s0, sendmsg(MSG_RTN_GET_DOORBELL)
	s_mov_b32 ttmp2, m0
	s_waitcnt lgkmcnt(0)
	s_and_b32 s0, s0, 0x3ff
	s_delay_alu instid0(SALU_CYCLE_1) | instskip(NEXT) | instid1(SALU_CYCLE_1)
	s_bitset1_b32 s0, 10
	s_mov_b32 m0, s0
	s_sendmsg sendmsg(MSG_INTERRUPT)
	s_mov_b32 m0, ttmp2
.LBB2_1820:                             ; =>This Inner Loop Header: Depth=1
	s_sethalt 5
	s_branch .LBB2_1820
.LBB2_1821:
	s_trap 2
	s_sendmsg_rtn_b32 s0, sendmsg(MSG_RTN_GET_DOORBELL)
	s_mov_b32 ttmp2, m0
	s_waitcnt lgkmcnt(0)
	s_and_b32 s0, s0, 0x3ff
	s_delay_alu instid0(SALU_CYCLE_1) | instskip(NEXT) | instid1(SALU_CYCLE_1)
	s_bitset1_b32 s0, 10
	s_mov_b32 m0, s0
	s_sendmsg sendmsg(MSG_INTERRUPT)
	s_mov_b32 m0, ttmp2
.LBB2_1822:                             ; =>This Inner Loop Header: Depth=1
	s_sethalt 5
	s_branch .LBB2_1822
.LBB2_1823:
	s_trap 2
	s_sendmsg_rtn_b32 s0, sendmsg(MSG_RTN_GET_DOORBELL)
	s_mov_b32 ttmp2, m0
	s_waitcnt lgkmcnt(0)
	s_and_b32 s0, s0, 0x3ff
	s_delay_alu instid0(SALU_CYCLE_1) | instskip(NEXT) | instid1(SALU_CYCLE_1)
	s_bitset1_b32 s0, 10
	s_mov_b32 m0, s0
	s_sendmsg sendmsg(MSG_INTERRUPT)
	s_mov_b32 m0, ttmp2
.LBB2_1824:                             ; =>This Inner Loop Header: Depth=1
	s_sethalt 5
	s_branch .LBB2_1824
.LBB2_1825:
	s_trap 2
	s_sendmsg_rtn_b32 s0, sendmsg(MSG_RTN_GET_DOORBELL)
	s_mov_b32 ttmp2, m0
	s_waitcnt lgkmcnt(0)
	s_and_b32 s0, s0, 0x3ff
	s_delay_alu instid0(SALU_CYCLE_1) | instskip(NEXT) | instid1(SALU_CYCLE_1)
	s_bitset1_b32 s0, 10
	s_mov_b32 m0, s0
	s_sendmsg sendmsg(MSG_INTERRUPT)
	s_mov_b32 m0, ttmp2
.LBB2_1826:                             ; =>This Inner Loop Header: Depth=1
	s_sethalt 5
	s_branch .LBB2_1826
.LBB2_1827:
	s_trap 2
	s_sendmsg_rtn_b32 s0, sendmsg(MSG_RTN_GET_DOORBELL)
	s_mov_b32 ttmp2, m0
	s_waitcnt lgkmcnt(0)
	s_and_b32 s0, s0, 0x3ff
	s_delay_alu instid0(SALU_CYCLE_1) | instskip(NEXT) | instid1(SALU_CYCLE_1)
	s_bitset1_b32 s0, 10
	s_mov_b32 m0, s0
	s_sendmsg sendmsg(MSG_INTERRUPT)
	s_mov_b32 m0, ttmp2
.LBB2_1828:                             ; =>This Inner Loop Header: Depth=1
	s_sethalt 5
	s_branch .LBB2_1828
.LBB2_1829:
	s_trap 2
	s_sendmsg_rtn_b32 s0, sendmsg(MSG_RTN_GET_DOORBELL)
	s_mov_b32 ttmp2, m0
	s_waitcnt lgkmcnt(0)
	s_and_b32 s0, s0, 0x3ff
	s_delay_alu instid0(SALU_CYCLE_1) | instskip(NEXT) | instid1(SALU_CYCLE_1)
	s_bitset1_b32 s0, 10
	s_mov_b32 m0, s0
	s_sendmsg sendmsg(MSG_INTERRUPT)
	s_mov_b32 m0, ttmp2
.LBB2_1830:                             ; =>This Inner Loop Header: Depth=1
	s_sethalt 5
	s_branch .LBB2_1830
.LBB2_1831:
	s_trap 2
	s_sendmsg_rtn_b32 s0, sendmsg(MSG_RTN_GET_DOORBELL)
	s_mov_b32 ttmp2, m0
	s_waitcnt lgkmcnt(0)
	s_and_b32 s0, s0, 0x3ff
	s_delay_alu instid0(SALU_CYCLE_1) | instskip(NEXT) | instid1(SALU_CYCLE_1)
	s_bitset1_b32 s0, 10
	s_mov_b32 m0, s0
	s_sendmsg sendmsg(MSG_INTERRUPT)
	s_mov_b32 m0, ttmp2
.LBB2_1832:                             ; =>This Inner Loop Header: Depth=1
	s_sethalt 5
	s_branch .LBB2_1832
.LBB2_1833:
	s_trap 2
	s_sendmsg_rtn_b32 s0, sendmsg(MSG_RTN_GET_DOORBELL)
	s_mov_b32 ttmp2, m0
	s_waitcnt lgkmcnt(0)
	s_and_b32 s0, s0, 0x3ff
	s_delay_alu instid0(SALU_CYCLE_1) | instskip(NEXT) | instid1(SALU_CYCLE_1)
	s_bitset1_b32 s0, 10
	s_mov_b32 m0, s0
	s_sendmsg sendmsg(MSG_INTERRUPT)
	s_mov_b32 m0, ttmp2
.LBB2_1834:                             ; =>This Inner Loop Header: Depth=1
	s_sethalt 5
	s_branch .LBB2_1834
.LBB2_1835:
	s_trap 2
	s_sendmsg_rtn_b32 s0, sendmsg(MSG_RTN_GET_DOORBELL)
	s_mov_b32 ttmp2, m0
	s_waitcnt lgkmcnt(0)
	s_and_b32 s0, s0, 0x3ff
	s_delay_alu instid0(SALU_CYCLE_1) | instskip(NEXT) | instid1(SALU_CYCLE_1)
	s_bitset1_b32 s0, 10
	s_mov_b32 m0, s0
	s_sendmsg sendmsg(MSG_INTERRUPT)
	s_mov_b32 m0, ttmp2
.LBB2_1836:                             ; =>This Inner Loop Header: Depth=1
	s_sethalt 5
	s_branch .LBB2_1836
.LBB2_1837:
	s_trap 2
	s_sendmsg_rtn_b32 s0, sendmsg(MSG_RTN_GET_DOORBELL)
	s_mov_b32 ttmp2, m0
	s_waitcnt lgkmcnt(0)
	s_and_b32 s0, s0, 0x3ff
	s_delay_alu instid0(SALU_CYCLE_1) | instskip(NEXT) | instid1(SALU_CYCLE_1)
	s_bitset1_b32 s0, 10
	s_mov_b32 m0, s0
	s_sendmsg sendmsg(MSG_INTERRUPT)
	s_mov_b32 m0, ttmp2
.LBB2_1838:                             ; =>This Inner Loop Header: Depth=1
	s_sethalt 5
	s_branch .LBB2_1838
.LBB2_1839:
	s_trap 2
	s_sendmsg_rtn_b32 s0, sendmsg(MSG_RTN_GET_DOORBELL)
	s_mov_b32 ttmp2, m0
	s_waitcnt lgkmcnt(0)
	s_and_b32 s0, s0, 0x3ff
	s_delay_alu instid0(SALU_CYCLE_1) | instskip(NEXT) | instid1(SALU_CYCLE_1)
	s_bitset1_b32 s0, 10
	s_mov_b32 m0, s0
	s_sendmsg sendmsg(MSG_INTERRUPT)
	s_mov_b32 m0, ttmp2
.LBB2_1840:                             ; =>This Inner Loop Header: Depth=1
	s_sethalt 5
	s_branch .LBB2_1840
.LBB2_1841:
	s_trap 2
	s_sendmsg_rtn_b32 s0, sendmsg(MSG_RTN_GET_DOORBELL)
	s_mov_b32 ttmp2, m0
	s_waitcnt lgkmcnt(0)
	s_and_b32 s0, s0, 0x3ff
	s_delay_alu instid0(SALU_CYCLE_1) | instskip(NEXT) | instid1(SALU_CYCLE_1)
	s_bitset1_b32 s0, 10
	s_mov_b32 m0, s0
	s_sendmsg sendmsg(MSG_INTERRUPT)
	s_mov_b32 m0, ttmp2
.LBB2_1842:                             ; =>This Inner Loop Header: Depth=1
	s_sethalt 5
	s_branch .LBB2_1842
.LBB2_1843:
	s_trap 2
	s_sendmsg_rtn_b32 s0, sendmsg(MSG_RTN_GET_DOORBELL)
	s_mov_b32 ttmp2, m0
	s_waitcnt lgkmcnt(0)
	s_and_b32 s0, s0, 0x3ff
	s_delay_alu instid0(SALU_CYCLE_1) | instskip(NEXT) | instid1(SALU_CYCLE_1)
	s_bitset1_b32 s0, 10
	s_mov_b32 m0, s0
	s_sendmsg sendmsg(MSG_INTERRUPT)
	s_mov_b32 m0, ttmp2
.LBB2_1844:                             ; =>This Inner Loop Header: Depth=1
	s_sethalt 5
	s_branch .LBB2_1844
.LBB2_1845:
	s_trap 2
	s_sendmsg_rtn_b32 s0, sendmsg(MSG_RTN_GET_DOORBELL)
	s_mov_b32 ttmp2, m0
	s_waitcnt lgkmcnt(0)
	s_and_b32 s0, s0, 0x3ff
	s_delay_alu instid0(SALU_CYCLE_1) | instskip(NEXT) | instid1(SALU_CYCLE_1)
	s_bitset1_b32 s0, 10
	s_mov_b32 m0, s0
	s_sendmsg sendmsg(MSG_INTERRUPT)
	s_mov_b32 m0, ttmp2
.LBB2_1846:                             ; =>This Inner Loop Header: Depth=1
	s_sethalt 5
	s_branch .LBB2_1846
.LBB2_1847:
	s_trap 2
	s_sendmsg_rtn_b32 s0, sendmsg(MSG_RTN_GET_DOORBELL)
	s_mov_b32 ttmp2, m0
	s_waitcnt lgkmcnt(0)
	s_and_b32 s0, s0, 0x3ff
	s_delay_alu instid0(SALU_CYCLE_1) | instskip(NEXT) | instid1(SALU_CYCLE_1)
	s_bitset1_b32 s0, 10
	s_mov_b32 m0, s0
	s_sendmsg sendmsg(MSG_INTERRUPT)
	s_mov_b32 m0, ttmp2
.LBB2_1848:                             ; =>This Inner Loop Header: Depth=1
	s_sethalt 5
	s_branch .LBB2_1848
.LBB2_1849:
	s_trap 2
	s_sendmsg_rtn_b32 s0, sendmsg(MSG_RTN_GET_DOORBELL)
	s_mov_b32 ttmp2, m0
	s_waitcnt lgkmcnt(0)
	s_and_b32 s0, s0, 0x3ff
	s_delay_alu instid0(SALU_CYCLE_1) | instskip(NEXT) | instid1(SALU_CYCLE_1)
	s_bitset1_b32 s0, 10
	s_mov_b32 m0, s0
	s_sendmsg sendmsg(MSG_INTERRUPT)
	s_mov_b32 m0, ttmp2
.LBB2_1850:                             ; =>This Inner Loop Header: Depth=1
	s_sethalt 5
	s_branch .LBB2_1850
.LBB2_1851:
	s_trap 2
	s_sendmsg_rtn_b32 s0, sendmsg(MSG_RTN_GET_DOORBELL)
	s_mov_b32 ttmp2, m0
	s_waitcnt lgkmcnt(0)
	s_and_b32 s0, s0, 0x3ff
	s_delay_alu instid0(SALU_CYCLE_1) | instskip(NEXT) | instid1(SALU_CYCLE_1)
	s_bitset1_b32 s0, 10
	s_mov_b32 m0, s0
	s_sendmsg sendmsg(MSG_INTERRUPT)
	s_mov_b32 m0, ttmp2
.LBB2_1852:                             ; =>This Inner Loop Header: Depth=1
	s_sethalt 5
	s_branch .LBB2_1852
.LBB2_1853:
	s_trap 2
	s_sendmsg_rtn_b32 s0, sendmsg(MSG_RTN_GET_DOORBELL)
	s_mov_b32 ttmp2, m0
	s_waitcnt lgkmcnt(0)
	s_and_b32 s0, s0, 0x3ff
	s_delay_alu instid0(SALU_CYCLE_1) | instskip(NEXT) | instid1(SALU_CYCLE_1)
	s_bitset1_b32 s0, 10
	s_mov_b32 m0, s0
	s_sendmsg sendmsg(MSG_INTERRUPT)
	s_mov_b32 m0, ttmp2
.LBB2_1854:                             ; =>This Inner Loop Header: Depth=1
	s_sethalt 5
	s_branch .LBB2_1854
.LBB2_1855:
	s_trap 2
	s_sendmsg_rtn_b32 s0, sendmsg(MSG_RTN_GET_DOORBELL)
	s_mov_b32 ttmp2, m0
	s_waitcnt lgkmcnt(0)
	s_and_b32 s0, s0, 0x3ff
	s_delay_alu instid0(SALU_CYCLE_1) | instskip(NEXT) | instid1(SALU_CYCLE_1)
	s_bitset1_b32 s0, 10
	s_mov_b32 m0, s0
	s_sendmsg sendmsg(MSG_INTERRUPT)
	s_mov_b32 m0, ttmp2
.LBB2_1856:                             ; =>This Inner Loop Header: Depth=1
	s_sethalt 5
	s_branch .LBB2_1856
.LBB2_1857:
	s_trap 2
	s_sendmsg_rtn_b32 s0, sendmsg(MSG_RTN_GET_DOORBELL)
	s_mov_b32 ttmp2, m0
	s_waitcnt lgkmcnt(0)
	s_and_b32 s0, s0, 0x3ff
	s_delay_alu instid0(SALU_CYCLE_1) | instskip(NEXT) | instid1(SALU_CYCLE_1)
	s_bitset1_b32 s0, 10
	s_mov_b32 m0, s0
	s_sendmsg sendmsg(MSG_INTERRUPT)
	s_mov_b32 m0, ttmp2
.LBB2_1858:                             ; =>This Inner Loop Header: Depth=1
	s_sethalt 5
	s_branch .LBB2_1858
.LBB2_1859:
	s_trap 2
	s_sendmsg_rtn_b32 s0, sendmsg(MSG_RTN_GET_DOORBELL)
	s_mov_b32 ttmp2, m0
	s_waitcnt lgkmcnt(0)
	s_and_b32 s0, s0, 0x3ff
	s_delay_alu instid0(SALU_CYCLE_1) | instskip(NEXT) | instid1(SALU_CYCLE_1)
	s_bitset1_b32 s0, 10
	s_mov_b32 m0, s0
	s_sendmsg sendmsg(MSG_INTERRUPT)
	s_mov_b32 m0, ttmp2
.LBB2_1860:                             ; =>This Inner Loop Header: Depth=1
	s_sethalt 5
	s_branch .LBB2_1860
.LBB2_1861:
	s_trap 2
	s_sendmsg_rtn_b32 s0, sendmsg(MSG_RTN_GET_DOORBELL)
	s_mov_b32 ttmp2, m0
	s_waitcnt lgkmcnt(0)
	s_and_b32 s0, s0, 0x3ff
	s_delay_alu instid0(SALU_CYCLE_1) | instskip(NEXT) | instid1(SALU_CYCLE_1)
	s_bitset1_b32 s0, 10
	s_mov_b32 m0, s0
	s_sendmsg sendmsg(MSG_INTERRUPT)
	s_mov_b32 m0, ttmp2
.LBB2_1862:                             ; =>This Inner Loop Header: Depth=1
	s_sethalt 5
	s_branch .LBB2_1862
.LBB2_1863:
	s_trap 2
	s_sendmsg_rtn_b32 s0, sendmsg(MSG_RTN_GET_DOORBELL)
	s_mov_b32 ttmp2, m0
	s_waitcnt lgkmcnt(0)
	s_and_b32 s0, s0, 0x3ff
	s_delay_alu instid0(SALU_CYCLE_1) | instskip(NEXT) | instid1(SALU_CYCLE_1)
	s_bitset1_b32 s0, 10
	s_mov_b32 m0, s0
	s_sendmsg sendmsg(MSG_INTERRUPT)
	s_mov_b32 m0, ttmp2
.LBB2_1864:                             ; =>This Inner Loop Header: Depth=1
	s_sethalt 5
	s_branch .LBB2_1864
.LBB2_1865:
	s_trap 2
	s_sendmsg_rtn_b32 s0, sendmsg(MSG_RTN_GET_DOORBELL)
	s_mov_b32 ttmp2, m0
	s_waitcnt lgkmcnt(0)
	s_and_b32 s0, s0, 0x3ff
	s_delay_alu instid0(SALU_CYCLE_1) | instskip(NEXT) | instid1(SALU_CYCLE_1)
	s_bitset1_b32 s0, 10
	s_mov_b32 m0, s0
	s_sendmsg sendmsg(MSG_INTERRUPT)
	s_mov_b32 m0, ttmp2
.LBB2_1866:                             ; =>This Inner Loop Header: Depth=1
	s_sethalt 5
	s_branch .LBB2_1866
.LBB2_1867:
	s_trap 2
	s_sendmsg_rtn_b32 s0, sendmsg(MSG_RTN_GET_DOORBELL)
	s_mov_b32 ttmp2, m0
	s_waitcnt lgkmcnt(0)
	s_and_b32 s0, s0, 0x3ff
	s_delay_alu instid0(SALU_CYCLE_1) | instskip(NEXT) | instid1(SALU_CYCLE_1)
	s_bitset1_b32 s0, 10
	s_mov_b32 m0, s0
	s_sendmsg sendmsg(MSG_INTERRUPT)
	s_mov_b32 m0, ttmp2
.LBB2_1868:                             ; =>This Inner Loop Header: Depth=1
	s_sethalt 5
	s_branch .LBB2_1868
.LBB2_1869:
	s_trap 2
	s_sendmsg_rtn_b32 s0, sendmsg(MSG_RTN_GET_DOORBELL)
	s_mov_b32 ttmp2, m0
	s_waitcnt lgkmcnt(0)
	s_and_b32 s0, s0, 0x3ff
	s_delay_alu instid0(SALU_CYCLE_1) | instskip(NEXT) | instid1(SALU_CYCLE_1)
	s_bitset1_b32 s0, 10
	s_mov_b32 m0, s0
	s_sendmsg sendmsg(MSG_INTERRUPT)
	s_mov_b32 m0, ttmp2
.LBB2_1870:                             ; =>This Inner Loop Header: Depth=1
	s_sethalt 5
	s_branch .LBB2_1870
.LBB2_1871:
	s_trap 2
	s_sendmsg_rtn_b32 s0, sendmsg(MSG_RTN_GET_DOORBELL)
	s_mov_b32 ttmp2, m0
	s_waitcnt lgkmcnt(0)
	s_and_b32 s0, s0, 0x3ff
	s_delay_alu instid0(SALU_CYCLE_1) | instskip(NEXT) | instid1(SALU_CYCLE_1)
	s_bitset1_b32 s0, 10
	s_mov_b32 m0, s0
	s_sendmsg sendmsg(MSG_INTERRUPT)
	s_mov_b32 m0, ttmp2
.LBB2_1872:                             ; =>This Inner Loop Header: Depth=1
	s_sethalt 5
	s_branch .LBB2_1872
.LBB2_1873:
	s_trap 2
	s_sendmsg_rtn_b32 s0, sendmsg(MSG_RTN_GET_DOORBELL)
	s_mov_b32 ttmp2, m0
	s_waitcnt lgkmcnt(0)
	s_and_b32 s0, s0, 0x3ff
	s_delay_alu instid0(SALU_CYCLE_1) | instskip(NEXT) | instid1(SALU_CYCLE_1)
	s_bitset1_b32 s0, 10
	s_mov_b32 m0, s0
	s_sendmsg sendmsg(MSG_INTERRUPT)
	s_mov_b32 m0, ttmp2
.LBB2_1874:                             ; =>This Inner Loop Header: Depth=1
	s_sethalt 5
	s_branch .LBB2_1874
.LBB2_1875:
	s_trap 2
	s_sendmsg_rtn_b32 s0, sendmsg(MSG_RTN_GET_DOORBELL)
	s_mov_b32 ttmp2, m0
	s_waitcnt lgkmcnt(0)
	s_and_b32 s0, s0, 0x3ff
	s_delay_alu instid0(SALU_CYCLE_1) | instskip(NEXT) | instid1(SALU_CYCLE_1)
	s_bitset1_b32 s0, 10
	s_mov_b32 m0, s0
	s_sendmsg sendmsg(MSG_INTERRUPT)
	s_mov_b32 m0, ttmp2
.LBB2_1876:                             ; =>This Inner Loop Header: Depth=1
	s_sethalt 5
	s_branch .LBB2_1876
.LBB2_1877:
	s_trap 2
	s_sendmsg_rtn_b32 s0, sendmsg(MSG_RTN_GET_DOORBELL)
	s_mov_b32 ttmp2, m0
	s_waitcnt lgkmcnt(0)
	s_and_b32 s0, s0, 0x3ff
	s_delay_alu instid0(SALU_CYCLE_1) | instskip(NEXT) | instid1(SALU_CYCLE_1)
	s_bitset1_b32 s0, 10
	s_mov_b32 m0, s0
	s_sendmsg sendmsg(MSG_INTERRUPT)
	s_mov_b32 m0, ttmp2
.LBB2_1878:                             ; =>This Inner Loop Header: Depth=1
	s_sethalt 5
	s_branch .LBB2_1878
.LBB2_1879:
	s_trap 2
	s_sendmsg_rtn_b32 s0, sendmsg(MSG_RTN_GET_DOORBELL)
	s_mov_b32 ttmp2, m0
	s_waitcnt lgkmcnt(0)
	s_and_b32 s0, s0, 0x3ff
	s_delay_alu instid0(SALU_CYCLE_1) | instskip(NEXT) | instid1(SALU_CYCLE_1)
	s_bitset1_b32 s0, 10
	s_mov_b32 m0, s0
	s_sendmsg sendmsg(MSG_INTERRUPT)
	s_mov_b32 m0, ttmp2
.LBB2_1880:                             ; =>This Inner Loop Header: Depth=1
	s_sethalt 5
	s_branch .LBB2_1880
.LBB2_1881:
	s_trap 2
	s_sendmsg_rtn_b32 s0, sendmsg(MSG_RTN_GET_DOORBELL)
	s_mov_b32 ttmp2, m0
	s_waitcnt lgkmcnt(0)
	s_and_b32 s0, s0, 0x3ff
	s_delay_alu instid0(SALU_CYCLE_1) | instskip(NEXT) | instid1(SALU_CYCLE_1)
	s_bitset1_b32 s0, 10
	s_mov_b32 m0, s0
	s_sendmsg sendmsg(MSG_INTERRUPT)
	s_mov_b32 m0, ttmp2
.LBB2_1882:                             ; =>This Inner Loop Header: Depth=1
	s_sethalt 5
	s_branch .LBB2_1882
.LBB2_1883:
	s_trap 2
	s_sendmsg_rtn_b32 s0, sendmsg(MSG_RTN_GET_DOORBELL)
	s_mov_b32 ttmp2, m0
	s_waitcnt lgkmcnt(0)
	s_and_b32 s0, s0, 0x3ff
	s_delay_alu instid0(SALU_CYCLE_1) | instskip(NEXT) | instid1(SALU_CYCLE_1)
	s_bitset1_b32 s0, 10
	s_mov_b32 m0, s0
	s_sendmsg sendmsg(MSG_INTERRUPT)
	s_mov_b32 m0, ttmp2
.LBB2_1884:                             ; =>This Inner Loop Header: Depth=1
	s_sethalt 5
	s_branch .LBB2_1884
.LBB2_1885:
	s_trap 2
	s_sendmsg_rtn_b32 s0, sendmsg(MSG_RTN_GET_DOORBELL)
	s_mov_b32 ttmp2, m0
	s_waitcnt lgkmcnt(0)
	s_and_b32 s0, s0, 0x3ff
	s_delay_alu instid0(SALU_CYCLE_1) | instskip(NEXT) | instid1(SALU_CYCLE_1)
	s_bitset1_b32 s0, 10
	s_mov_b32 m0, s0
	s_sendmsg sendmsg(MSG_INTERRUPT)
	s_mov_b32 m0, ttmp2
.LBB2_1886:                             ; =>This Inner Loop Header: Depth=1
	s_sethalt 5
	s_branch .LBB2_1886
.LBB2_1887:
	s_trap 2
	s_sendmsg_rtn_b32 s0, sendmsg(MSG_RTN_GET_DOORBELL)
	s_mov_b32 ttmp2, m0
	s_waitcnt lgkmcnt(0)
	s_and_b32 s0, s0, 0x3ff
	s_delay_alu instid0(SALU_CYCLE_1) | instskip(NEXT) | instid1(SALU_CYCLE_1)
	s_bitset1_b32 s0, 10
	s_mov_b32 m0, s0
	s_sendmsg sendmsg(MSG_INTERRUPT)
	s_mov_b32 m0, ttmp2
.LBB2_1888:                             ; =>This Inner Loop Header: Depth=1
	s_sethalt 5
	s_branch .LBB2_1888
.LBB2_1889:
	s_trap 2
	s_sendmsg_rtn_b32 s0, sendmsg(MSG_RTN_GET_DOORBELL)
	s_mov_b32 ttmp2, m0
	s_waitcnt lgkmcnt(0)
	s_and_b32 s0, s0, 0x3ff
	s_delay_alu instid0(SALU_CYCLE_1) | instskip(NEXT) | instid1(SALU_CYCLE_1)
	s_bitset1_b32 s0, 10
	s_mov_b32 m0, s0
	s_sendmsg sendmsg(MSG_INTERRUPT)
	s_mov_b32 m0, ttmp2
.LBB2_1890:                             ; =>This Inner Loop Header: Depth=1
	s_sethalt 5
	s_branch .LBB2_1890
.LBB2_1891:
	s_trap 2
	s_sendmsg_rtn_b32 s0, sendmsg(MSG_RTN_GET_DOORBELL)
	s_mov_b32 ttmp2, m0
	s_waitcnt lgkmcnt(0)
	s_and_b32 s0, s0, 0x3ff
	s_delay_alu instid0(SALU_CYCLE_1) | instskip(NEXT) | instid1(SALU_CYCLE_1)
	s_bitset1_b32 s0, 10
	s_mov_b32 m0, s0
	s_sendmsg sendmsg(MSG_INTERRUPT)
	s_mov_b32 m0, ttmp2
.LBB2_1892:                             ; =>This Inner Loop Header: Depth=1
	s_sethalt 5
	s_branch .LBB2_1892
.LBB2_1893:
	s_trap 2
	s_sendmsg_rtn_b32 s0, sendmsg(MSG_RTN_GET_DOORBELL)
	s_mov_b32 ttmp2, m0
	s_waitcnt lgkmcnt(0)
	s_and_b32 s0, s0, 0x3ff
	s_delay_alu instid0(SALU_CYCLE_1) | instskip(NEXT) | instid1(SALU_CYCLE_1)
	s_bitset1_b32 s0, 10
	s_mov_b32 m0, s0
	s_sendmsg sendmsg(MSG_INTERRUPT)
	s_mov_b32 m0, ttmp2
.LBB2_1894:                             ; =>This Inner Loop Header: Depth=1
	s_sethalt 5
	s_branch .LBB2_1894
.LBB2_1895:
	s_trap 2
	s_sendmsg_rtn_b32 s0, sendmsg(MSG_RTN_GET_DOORBELL)
	s_mov_b32 ttmp2, m0
	s_waitcnt lgkmcnt(0)
	s_and_b32 s0, s0, 0x3ff
	s_delay_alu instid0(SALU_CYCLE_1) | instskip(NEXT) | instid1(SALU_CYCLE_1)
	s_bitset1_b32 s0, 10
	s_mov_b32 m0, s0
	s_sendmsg sendmsg(MSG_INTERRUPT)
	s_mov_b32 m0, ttmp2
.LBB2_1896:                             ; =>This Inner Loop Header: Depth=1
	s_sethalt 5
	s_branch .LBB2_1896
.LBB2_1897:
	s_trap 2
	s_sendmsg_rtn_b32 s0, sendmsg(MSG_RTN_GET_DOORBELL)
	s_mov_b32 ttmp2, m0
	s_waitcnt lgkmcnt(0)
	s_and_b32 s0, s0, 0x3ff
	s_delay_alu instid0(SALU_CYCLE_1) | instskip(NEXT) | instid1(SALU_CYCLE_1)
	s_bitset1_b32 s0, 10
	s_mov_b32 m0, s0
	s_sendmsg sendmsg(MSG_INTERRUPT)
	s_mov_b32 m0, ttmp2
.LBB2_1898:                             ; =>This Inner Loop Header: Depth=1
	s_sethalt 5
	s_branch .LBB2_1898
.LBB2_1899:
	s_trap 2
	s_sendmsg_rtn_b32 s0, sendmsg(MSG_RTN_GET_DOORBELL)
	s_mov_b32 ttmp2, m0
	s_waitcnt lgkmcnt(0)
	s_and_b32 s0, s0, 0x3ff
	s_delay_alu instid0(SALU_CYCLE_1) | instskip(NEXT) | instid1(SALU_CYCLE_1)
	s_bitset1_b32 s0, 10
	s_mov_b32 m0, s0
	s_sendmsg sendmsg(MSG_INTERRUPT)
	s_mov_b32 m0, ttmp2
.LBB2_1900:                             ; =>This Inner Loop Header: Depth=1
	s_sethalt 5
	s_branch .LBB2_1900
.LBB2_1901:
	s_trap 2
	s_sendmsg_rtn_b32 s0, sendmsg(MSG_RTN_GET_DOORBELL)
	s_mov_b32 ttmp2, m0
	s_waitcnt lgkmcnt(0)
	s_and_b32 s0, s0, 0x3ff
	s_delay_alu instid0(SALU_CYCLE_1) | instskip(NEXT) | instid1(SALU_CYCLE_1)
	s_bitset1_b32 s0, 10
	s_mov_b32 m0, s0
	s_sendmsg sendmsg(MSG_INTERRUPT)
	s_mov_b32 m0, ttmp2
.LBB2_1902:                             ; =>This Inner Loop Header: Depth=1
	s_sethalt 5
	s_branch .LBB2_1902
.LBB2_1903:
	s_trap 2
	s_sendmsg_rtn_b32 s0, sendmsg(MSG_RTN_GET_DOORBELL)
	s_mov_b32 ttmp2, m0
	s_waitcnt lgkmcnt(0)
	s_and_b32 s0, s0, 0x3ff
	s_delay_alu instid0(SALU_CYCLE_1) | instskip(NEXT) | instid1(SALU_CYCLE_1)
	s_bitset1_b32 s0, 10
	s_mov_b32 m0, s0
	s_sendmsg sendmsg(MSG_INTERRUPT)
	s_mov_b32 m0, ttmp2
.LBB2_1904:                             ; =>This Inner Loop Header: Depth=1
	s_sethalt 5
	s_branch .LBB2_1904
.LBB2_1905:
	s_trap 2
	s_sendmsg_rtn_b32 s0, sendmsg(MSG_RTN_GET_DOORBELL)
	s_mov_b32 ttmp2, m0
	s_waitcnt lgkmcnt(0)
	s_and_b32 s0, s0, 0x3ff
	s_delay_alu instid0(SALU_CYCLE_1) | instskip(NEXT) | instid1(SALU_CYCLE_1)
	s_bitset1_b32 s0, 10
	s_mov_b32 m0, s0
	s_sendmsg sendmsg(MSG_INTERRUPT)
	s_mov_b32 m0, ttmp2
.LBB2_1906:                             ; =>This Inner Loop Header: Depth=1
	s_sethalt 5
	s_branch .LBB2_1906
.LBB2_1907:
	s_trap 2
	s_sendmsg_rtn_b32 s0, sendmsg(MSG_RTN_GET_DOORBELL)
	s_mov_b32 ttmp2, m0
	s_waitcnt lgkmcnt(0)
	s_and_b32 s0, s0, 0x3ff
	s_delay_alu instid0(SALU_CYCLE_1) | instskip(NEXT) | instid1(SALU_CYCLE_1)
	s_bitset1_b32 s0, 10
	s_mov_b32 m0, s0
	s_sendmsg sendmsg(MSG_INTERRUPT)
	s_mov_b32 m0, ttmp2
.LBB2_1908:                             ; =>This Inner Loop Header: Depth=1
	s_sethalt 5
	s_branch .LBB2_1908
.LBB2_1909:
	s_trap 2
	s_sendmsg_rtn_b32 s0, sendmsg(MSG_RTN_GET_DOORBELL)
	s_mov_b32 ttmp2, m0
	s_waitcnt lgkmcnt(0)
	s_and_b32 s0, s0, 0x3ff
	s_delay_alu instid0(SALU_CYCLE_1) | instskip(NEXT) | instid1(SALU_CYCLE_1)
	s_bitset1_b32 s0, 10
	s_mov_b32 m0, s0
	s_sendmsg sendmsg(MSG_INTERRUPT)
	s_mov_b32 m0, ttmp2
.LBB2_1910:                             ; =>This Inner Loop Header: Depth=1
	s_sethalt 5
	s_branch .LBB2_1910
.LBB2_1911:
	s_trap 2
	s_sendmsg_rtn_b32 s0, sendmsg(MSG_RTN_GET_DOORBELL)
	s_mov_b32 ttmp2, m0
	s_waitcnt lgkmcnt(0)
	s_and_b32 s0, s0, 0x3ff
	s_delay_alu instid0(SALU_CYCLE_1) | instskip(NEXT) | instid1(SALU_CYCLE_1)
	s_bitset1_b32 s0, 10
	s_mov_b32 m0, s0
	s_sendmsg sendmsg(MSG_INTERRUPT)
	s_mov_b32 m0, ttmp2
.LBB2_1912:                             ; =>This Inner Loop Header: Depth=1
	s_sethalt 5
	s_branch .LBB2_1912
.LBB2_1913:
	s_trap 2
	s_sendmsg_rtn_b32 s0, sendmsg(MSG_RTN_GET_DOORBELL)
	s_mov_b32 ttmp2, m0
	s_waitcnt lgkmcnt(0)
	s_and_b32 s0, s0, 0x3ff
	s_delay_alu instid0(SALU_CYCLE_1) | instskip(NEXT) | instid1(SALU_CYCLE_1)
	s_bitset1_b32 s0, 10
	s_mov_b32 m0, s0
	s_sendmsg sendmsg(MSG_INTERRUPT)
	s_mov_b32 m0, ttmp2
.LBB2_1914:                             ; =>This Inner Loop Header: Depth=1
	s_sethalt 5
	s_branch .LBB2_1914
.LBB2_1915:
	s_trap 2
	s_sendmsg_rtn_b32 s0, sendmsg(MSG_RTN_GET_DOORBELL)
	s_mov_b32 ttmp2, m0
	s_waitcnt lgkmcnt(0)
	s_and_b32 s0, s0, 0x3ff
	s_delay_alu instid0(SALU_CYCLE_1) | instskip(NEXT) | instid1(SALU_CYCLE_1)
	s_bitset1_b32 s0, 10
	s_mov_b32 m0, s0
	s_sendmsg sendmsg(MSG_INTERRUPT)
	s_mov_b32 m0, ttmp2
.LBB2_1916:                             ; =>This Inner Loop Header: Depth=1
	s_sethalt 5
	s_branch .LBB2_1916
.LBB2_1917:
	s_trap 2
	s_sendmsg_rtn_b32 s0, sendmsg(MSG_RTN_GET_DOORBELL)
	s_mov_b32 ttmp2, m0
	s_waitcnt lgkmcnt(0)
	s_and_b32 s0, s0, 0x3ff
	s_delay_alu instid0(SALU_CYCLE_1) | instskip(NEXT) | instid1(SALU_CYCLE_1)
	s_bitset1_b32 s0, 10
	s_mov_b32 m0, s0
	s_sendmsg sendmsg(MSG_INTERRUPT)
	s_mov_b32 m0, ttmp2
.LBB2_1918:                             ; =>This Inner Loop Header: Depth=1
	s_sethalt 5
	s_branch .LBB2_1918
.LBB2_1919:
	s_trap 2
	s_sendmsg_rtn_b32 s0, sendmsg(MSG_RTN_GET_DOORBELL)
	s_mov_b32 ttmp2, m0
	s_waitcnt lgkmcnt(0)
	s_and_b32 s0, s0, 0x3ff
	s_delay_alu instid0(SALU_CYCLE_1) | instskip(NEXT) | instid1(SALU_CYCLE_1)
	s_bitset1_b32 s0, 10
	s_mov_b32 m0, s0
	s_sendmsg sendmsg(MSG_INTERRUPT)
	s_mov_b32 m0, ttmp2
.LBB2_1920:                             ; =>This Inner Loop Header: Depth=1
	s_sethalt 5
	s_branch .LBB2_1920
.LBB2_1921:
	s_trap 2
	s_sendmsg_rtn_b32 s0, sendmsg(MSG_RTN_GET_DOORBELL)
	s_mov_b32 ttmp2, m0
	s_waitcnt lgkmcnt(0)
	s_and_b32 s0, s0, 0x3ff
	s_delay_alu instid0(SALU_CYCLE_1) | instskip(NEXT) | instid1(SALU_CYCLE_1)
	s_bitset1_b32 s0, 10
	s_mov_b32 m0, s0
	s_sendmsg sendmsg(MSG_INTERRUPT)
	s_mov_b32 m0, ttmp2
.LBB2_1922:                             ; =>This Inner Loop Header: Depth=1
	s_sethalt 5
	s_branch .LBB2_1922
.LBB2_1923:
	s_trap 2
	s_sendmsg_rtn_b32 s0, sendmsg(MSG_RTN_GET_DOORBELL)
	s_mov_b32 ttmp2, m0
	s_waitcnt lgkmcnt(0)
	s_and_b32 s0, s0, 0x3ff
	s_delay_alu instid0(SALU_CYCLE_1) | instskip(NEXT) | instid1(SALU_CYCLE_1)
	s_bitset1_b32 s0, 10
	s_mov_b32 m0, s0
	s_sendmsg sendmsg(MSG_INTERRUPT)
	s_mov_b32 m0, ttmp2
.LBB2_1924:                             ; =>This Inner Loop Header: Depth=1
	s_sethalt 5
	s_branch .LBB2_1924
.LBB2_1925:
	s_trap 2
	s_sendmsg_rtn_b32 s0, sendmsg(MSG_RTN_GET_DOORBELL)
	s_mov_b32 ttmp2, m0
	s_waitcnt lgkmcnt(0)
	s_and_b32 s0, s0, 0x3ff
	s_delay_alu instid0(SALU_CYCLE_1) | instskip(NEXT) | instid1(SALU_CYCLE_1)
	s_bitset1_b32 s0, 10
	s_mov_b32 m0, s0
	s_sendmsg sendmsg(MSG_INTERRUPT)
	s_mov_b32 m0, ttmp2
.LBB2_1926:                             ; =>This Inner Loop Header: Depth=1
	s_sethalt 5
	s_branch .LBB2_1926
.LBB2_1927:
	s_trap 2
	s_sendmsg_rtn_b32 s0, sendmsg(MSG_RTN_GET_DOORBELL)
	s_mov_b32 ttmp2, m0
	s_waitcnt lgkmcnt(0)
	s_and_b32 s0, s0, 0x3ff
	s_delay_alu instid0(SALU_CYCLE_1) | instskip(NEXT) | instid1(SALU_CYCLE_1)
	s_bitset1_b32 s0, 10
	s_mov_b32 m0, s0
	s_sendmsg sendmsg(MSG_INTERRUPT)
	s_mov_b32 m0, ttmp2
.LBB2_1928:                             ; =>This Inner Loop Header: Depth=1
	s_sethalt 5
	s_branch .LBB2_1928
.LBB2_1929:
	s_trap 2
	s_sendmsg_rtn_b32 s0, sendmsg(MSG_RTN_GET_DOORBELL)
	s_mov_b32 ttmp2, m0
	s_waitcnt lgkmcnt(0)
	s_and_b32 s0, s0, 0x3ff
	s_delay_alu instid0(SALU_CYCLE_1) | instskip(NEXT) | instid1(SALU_CYCLE_1)
	s_bitset1_b32 s0, 10
	s_mov_b32 m0, s0
	s_sendmsg sendmsg(MSG_INTERRUPT)
	s_mov_b32 m0, ttmp2
.LBB2_1930:                             ; =>This Inner Loop Header: Depth=1
	s_sethalt 5
	s_branch .LBB2_1930
.LBB2_1931:
	s_trap 2
	s_sendmsg_rtn_b32 s0, sendmsg(MSG_RTN_GET_DOORBELL)
	s_mov_b32 ttmp2, m0
	s_waitcnt lgkmcnt(0)
	s_and_b32 s0, s0, 0x3ff
	s_delay_alu instid0(SALU_CYCLE_1) | instskip(NEXT) | instid1(SALU_CYCLE_1)
	s_bitset1_b32 s0, 10
	s_mov_b32 m0, s0
	s_sendmsg sendmsg(MSG_INTERRUPT)
	s_mov_b32 m0, ttmp2
.LBB2_1932:                             ; =>This Inner Loop Header: Depth=1
	s_sethalt 5
	s_branch .LBB2_1932
.LBB2_1933:
	s_trap 2
	s_sendmsg_rtn_b32 s0, sendmsg(MSG_RTN_GET_DOORBELL)
	s_mov_b32 ttmp2, m0
	s_waitcnt lgkmcnt(0)
	s_and_b32 s0, s0, 0x3ff
	s_delay_alu instid0(SALU_CYCLE_1) | instskip(NEXT) | instid1(SALU_CYCLE_1)
	s_bitset1_b32 s0, 10
	s_mov_b32 m0, s0
	s_sendmsg sendmsg(MSG_INTERRUPT)
	s_mov_b32 m0, ttmp2
.LBB2_1934:                             ; =>This Inner Loop Header: Depth=1
	s_sethalt 5
	s_branch .LBB2_1934
.LBB2_1935:
	s_trap 2
	s_sendmsg_rtn_b32 s0, sendmsg(MSG_RTN_GET_DOORBELL)
	s_mov_b32 ttmp2, m0
	s_waitcnt lgkmcnt(0)
	s_and_b32 s0, s0, 0x3ff
	s_delay_alu instid0(SALU_CYCLE_1) | instskip(NEXT) | instid1(SALU_CYCLE_1)
	s_bitset1_b32 s0, 10
	s_mov_b32 m0, s0
	s_sendmsg sendmsg(MSG_INTERRUPT)
	s_mov_b32 m0, ttmp2
.LBB2_1936:                             ; =>This Inner Loop Header: Depth=1
	s_sethalt 5
	s_branch .LBB2_1936
.LBB2_1937:
	s_trap 2
	s_sendmsg_rtn_b32 s0, sendmsg(MSG_RTN_GET_DOORBELL)
	s_mov_b32 ttmp2, m0
	s_waitcnt lgkmcnt(0)
	s_and_b32 s0, s0, 0x3ff
	s_delay_alu instid0(SALU_CYCLE_1) | instskip(NEXT) | instid1(SALU_CYCLE_1)
	s_bitset1_b32 s0, 10
	s_mov_b32 m0, s0
	s_sendmsg sendmsg(MSG_INTERRUPT)
	s_mov_b32 m0, ttmp2
.LBB2_1938:                             ; =>This Inner Loop Header: Depth=1
	s_sethalt 5
	s_branch .LBB2_1938
.LBB2_1939:
	s_trap 2
	s_sendmsg_rtn_b32 s0, sendmsg(MSG_RTN_GET_DOORBELL)
	s_mov_b32 ttmp2, m0
	s_waitcnt lgkmcnt(0)
	s_and_b32 s0, s0, 0x3ff
	s_delay_alu instid0(SALU_CYCLE_1) | instskip(NEXT) | instid1(SALU_CYCLE_1)
	s_bitset1_b32 s0, 10
	s_mov_b32 m0, s0
	s_sendmsg sendmsg(MSG_INTERRUPT)
	s_mov_b32 m0, ttmp2
.LBB2_1940:                             ; =>This Inner Loop Header: Depth=1
	s_sethalt 5
	s_branch .LBB2_1940
.LBB2_1941:
	s_trap 2
	s_sendmsg_rtn_b32 s0, sendmsg(MSG_RTN_GET_DOORBELL)
	s_mov_b32 ttmp2, m0
	s_waitcnt lgkmcnt(0)
	s_and_b32 s0, s0, 0x3ff
	s_delay_alu instid0(SALU_CYCLE_1) | instskip(NEXT) | instid1(SALU_CYCLE_1)
	s_bitset1_b32 s0, 10
	s_mov_b32 m0, s0
	s_sendmsg sendmsg(MSG_INTERRUPT)
	s_mov_b32 m0, ttmp2
.LBB2_1942:                             ; =>This Inner Loop Header: Depth=1
	s_sethalt 5
	s_branch .LBB2_1942
.LBB2_1943:
	s_trap 2
	s_sendmsg_rtn_b32 s0, sendmsg(MSG_RTN_GET_DOORBELL)
	s_mov_b32 ttmp2, m0
	s_waitcnt lgkmcnt(0)
	s_and_b32 s0, s0, 0x3ff
	s_delay_alu instid0(SALU_CYCLE_1) | instskip(NEXT) | instid1(SALU_CYCLE_1)
	s_bitset1_b32 s0, 10
	s_mov_b32 m0, s0
	s_sendmsg sendmsg(MSG_INTERRUPT)
	s_mov_b32 m0, ttmp2
.LBB2_1944:                             ; =>This Inner Loop Header: Depth=1
	s_sethalt 5
	s_branch .LBB2_1944
.LBB2_1945:
	s_trap 2
	s_sendmsg_rtn_b32 s0, sendmsg(MSG_RTN_GET_DOORBELL)
	s_mov_b32 ttmp2, m0
	s_waitcnt lgkmcnt(0)
	s_and_b32 s0, s0, 0x3ff
	s_delay_alu instid0(SALU_CYCLE_1) | instskip(NEXT) | instid1(SALU_CYCLE_1)
	s_bitset1_b32 s0, 10
	s_mov_b32 m0, s0
	s_sendmsg sendmsg(MSG_INTERRUPT)
	s_mov_b32 m0, ttmp2
.LBB2_1946:                             ; =>This Inner Loop Header: Depth=1
	s_sethalt 5
	s_branch .LBB2_1946
.LBB2_1947:
	s_trap 2
	s_sendmsg_rtn_b32 s0, sendmsg(MSG_RTN_GET_DOORBELL)
	s_mov_b32 ttmp2, m0
	s_waitcnt lgkmcnt(0)
	s_and_b32 s0, s0, 0x3ff
	s_delay_alu instid0(SALU_CYCLE_1) | instskip(NEXT) | instid1(SALU_CYCLE_1)
	s_bitset1_b32 s0, 10
	s_mov_b32 m0, s0
	s_sendmsg sendmsg(MSG_INTERRUPT)
	s_mov_b32 m0, ttmp2
.LBB2_1948:                             ; =>This Inner Loop Header: Depth=1
	s_sethalt 5
	s_branch .LBB2_1948
.LBB2_1949:
	s_trap 2
	s_sendmsg_rtn_b32 s0, sendmsg(MSG_RTN_GET_DOORBELL)
	s_mov_b32 ttmp2, m0
	s_waitcnt lgkmcnt(0)
	s_and_b32 s0, s0, 0x3ff
	s_delay_alu instid0(SALU_CYCLE_1) | instskip(NEXT) | instid1(SALU_CYCLE_1)
	s_bitset1_b32 s0, 10
	s_mov_b32 m0, s0
	s_sendmsg sendmsg(MSG_INTERRUPT)
	s_mov_b32 m0, ttmp2
.LBB2_1950:                             ; =>This Inner Loop Header: Depth=1
	s_sethalt 5
	s_branch .LBB2_1950
.LBB2_1951:
	s_trap 2
	s_sendmsg_rtn_b32 s0, sendmsg(MSG_RTN_GET_DOORBELL)
	s_mov_b32 ttmp2, m0
	s_waitcnt lgkmcnt(0)
	s_and_b32 s0, s0, 0x3ff
	s_delay_alu instid0(SALU_CYCLE_1) | instskip(NEXT) | instid1(SALU_CYCLE_1)
	s_bitset1_b32 s0, 10
	s_mov_b32 m0, s0
	s_sendmsg sendmsg(MSG_INTERRUPT)
	s_mov_b32 m0, ttmp2
.LBB2_1952:                             ; =>This Inner Loop Header: Depth=1
	s_sethalt 5
	s_branch .LBB2_1952
.LBB2_1953:
	s_trap 2
	s_sendmsg_rtn_b32 s0, sendmsg(MSG_RTN_GET_DOORBELL)
	s_mov_b32 ttmp2, m0
	s_waitcnt lgkmcnt(0)
	s_and_b32 s0, s0, 0x3ff
	s_delay_alu instid0(SALU_CYCLE_1) | instskip(NEXT) | instid1(SALU_CYCLE_1)
	s_bitset1_b32 s0, 10
	s_mov_b32 m0, s0
	s_sendmsg sendmsg(MSG_INTERRUPT)
	s_mov_b32 m0, ttmp2
.LBB2_1954:                             ; =>This Inner Loop Header: Depth=1
	s_sethalt 5
	s_branch .LBB2_1954
.LBB2_1955:
	s_trap 2
	s_sendmsg_rtn_b32 s0, sendmsg(MSG_RTN_GET_DOORBELL)
	s_mov_b32 ttmp2, m0
	s_waitcnt lgkmcnt(0)
	s_and_b32 s0, s0, 0x3ff
	s_delay_alu instid0(SALU_CYCLE_1) | instskip(NEXT) | instid1(SALU_CYCLE_1)
	s_bitset1_b32 s0, 10
	s_mov_b32 m0, s0
	s_sendmsg sendmsg(MSG_INTERRUPT)
	s_mov_b32 m0, ttmp2
.LBB2_1956:                             ; =>This Inner Loop Header: Depth=1
	s_sethalt 5
	s_branch .LBB2_1956
.LBB2_1957:
	s_trap 2
	s_sendmsg_rtn_b32 s0, sendmsg(MSG_RTN_GET_DOORBELL)
	s_mov_b32 ttmp2, m0
	s_waitcnt lgkmcnt(0)
	s_and_b32 s0, s0, 0x3ff
	s_delay_alu instid0(SALU_CYCLE_1) | instskip(NEXT) | instid1(SALU_CYCLE_1)
	s_bitset1_b32 s0, 10
	s_mov_b32 m0, s0
	s_sendmsg sendmsg(MSG_INTERRUPT)
	s_mov_b32 m0, ttmp2
.LBB2_1958:                             ; =>This Inner Loop Header: Depth=1
	s_sethalt 5
	s_branch .LBB2_1958
.LBB2_1959:
	s_trap 2
	s_sendmsg_rtn_b32 s0, sendmsg(MSG_RTN_GET_DOORBELL)
	s_mov_b32 ttmp2, m0
	s_waitcnt lgkmcnt(0)
	s_and_b32 s0, s0, 0x3ff
	s_delay_alu instid0(SALU_CYCLE_1) | instskip(NEXT) | instid1(SALU_CYCLE_1)
	s_bitset1_b32 s0, 10
	s_mov_b32 m0, s0
	s_sendmsg sendmsg(MSG_INTERRUPT)
	s_mov_b32 m0, ttmp2
.LBB2_1960:                             ; =>This Inner Loop Header: Depth=1
	s_sethalt 5
	s_branch .LBB2_1960
.LBB2_1961:
	s_trap 2
	s_sendmsg_rtn_b32 s0, sendmsg(MSG_RTN_GET_DOORBELL)
	s_mov_b32 ttmp2, m0
	s_waitcnt lgkmcnt(0)
	s_and_b32 s0, s0, 0x3ff
	s_delay_alu instid0(SALU_CYCLE_1) | instskip(NEXT) | instid1(SALU_CYCLE_1)
	s_bitset1_b32 s0, 10
	s_mov_b32 m0, s0
	s_sendmsg sendmsg(MSG_INTERRUPT)
	s_mov_b32 m0, ttmp2
.LBB2_1962:                             ; =>This Inner Loop Header: Depth=1
	s_sethalt 5
	s_branch .LBB2_1962
.LBB2_1963:
	s_trap 2
	s_sendmsg_rtn_b32 s0, sendmsg(MSG_RTN_GET_DOORBELL)
	s_mov_b32 ttmp2, m0
	s_waitcnt lgkmcnt(0)
	s_and_b32 s0, s0, 0x3ff
	s_delay_alu instid0(SALU_CYCLE_1) | instskip(NEXT) | instid1(SALU_CYCLE_1)
	s_bitset1_b32 s0, 10
	s_mov_b32 m0, s0
	s_sendmsg sendmsg(MSG_INTERRUPT)
	s_mov_b32 m0, ttmp2
.LBB2_1964:                             ; =>This Inner Loop Header: Depth=1
	s_sethalt 5
	s_branch .LBB2_1964
.LBB2_1965:
	s_trap 2
	s_sendmsg_rtn_b32 s0, sendmsg(MSG_RTN_GET_DOORBELL)
	s_mov_b32 ttmp2, m0
	s_waitcnt lgkmcnt(0)
	s_and_b32 s0, s0, 0x3ff
	s_delay_alu instid0(SALU_CYCLE_1) | instskip(NEXT) | instid1(SALU_CYCLE_1)
	s_bitset1_b32 s0, 10
	s_mov_b32 m0, s0
	s_sendmsg sendmsg(MSG_INTERRUPT)
	s_mov_b32 m0, ttmp2
.LBB2_1966:                             ; =>This Inner Loop Header: Depth=1
	s_sethalt 5
	s_branch .LBB2_1966
.LBB2_1967:
	s_trap 2
	s_sendmsg_rtn_b32 s0, sendmsg(MSG_RTN_GET_DOORBELL)
	s_mov_b32 ttmp2, m0
	s_waitcnt lgkmcnt(0)
	s_and_b32 s0, s0, 0x3ff
	s_delay_alu instid0(SALU_CYCLE_1) | instskip(NEXT) | instid1(SALU_CYCLE_1)
	s_bitset1_b32 s0, 10
	s_mov_b32 m0, s0
	s_sendmsg sendmsg(MSG_INTERRUPT)
	s_mov_b32 m0, ttmp2
.LBB2_1968:                             ; =>This Inner Loop Header: Depth=1
	s_sethalt 5
	s_branch .LBB2_1968
.LBB2_1969:
	s_trap 2
	s_sendmsg_rtn_b32 s0, sendmsg(MSG_RTN_GET_DOORBELL)
	s_mov_b32 ttmp2, m0
	s_waitcnt lgkmcnt(0)
	s_and_b32 s0, s0, 0x3ff
	s_delay_alu instid0(SALU_CYCLE_1) | instskip(NEXT) | instid1(SALU_CYCLE_1)
	s_bitset1_b32 s0, 10
	s_mov_b32 m0, s0
	s_sendmsg sendmsg(MSG_INTERRUPT)
	s_mov_b32 m0, ttmp2
.LBB2_1970:                             ; =>This Inner Loop Header: Depth=1
	s_sethalt 5
	s_branch .LBB2_1970
.LBB2_1971:
	s_trap 2
	s_sendmsg_rtn_b32 s0, sendmsg(MSG_RTN_GET_DOORBELL)
	s_mov_b32 ttmp2, m0
	s_waitcnt lgkmcnt(0)
	s_and_b32 s0, s0, 0x3ff
	s_delay_alu instid0(SALU_CYCLE_1) | instskip(NEXT) | instid1(SALU_CYCLE_1)
	s_bitset1_b32 s0, 10
	s_mov_b32 m0, s0
	s_sendmsg sendmsg(MSG_INTERRUPT)
	s_mov_b32 m0, ttmp2
.LBB2_1972:                             ; =>This Inner Loop Header: Depth=1
	s_sethalt 5
	s_branch .LBB2_1972
.LBB2_1973:
	s_trap 2
	s_sendmsg_rtn_b32 s0, sendmsg(MSG_RTN_GET_DOORBELL)
	s_mov_b32 ttmp2, m0
	s_waitcnt lgkmcnt(0)
	s_and_b32 s0, s0, 0x3ff
	s_delay_alu instid0(SALU_CYCLE_1) | instskip(NEXT) | instid1(SALU_CYCLE_1)
	s_bitset1_b32 s0, 10
	s_mov_b32 m0, s0
	s_sendmsg sendmsg(MSG_INTERRUPT)
	s_mov_b32 m0, ttmp2
.LBB2_1974:                             ; =>This Inner Loop Header: Depth=1
	s_sethalt 5
	s_branch .LBB2_1974
.LBB2_1975:
	s_trap 2
	s_sendmsg_rtn_b32 s0, sendmsg(MSG_RTN_GET_DOORBELL)
	s_mov_b32 ttmp2, m0
	s_waitcnt lgkmcnt(0)
	s_and_b32 s0, s0, 0x3ff
	s_delay_alu instid0(SALU_CYCLE_1) | instskip(NEXT) | instid1(SALU_CYCLE_1)
	s_bitset1_b32 s0, 10
	s_mov_b32 m0, s0
	s_sendmsg sendmsg(MSG_INTERRUPT)
	s_mov_b32 m0, ttmp2
.LBB2_1976:                             ; =>This Inner Loop Header: Depth=1
	s_sethalt 5
	s_branch .LBB2_1976
.LBB2_1977:
	s_trap 2
	s_sendmsg_rtn_b32 s0, sendmsg(MSG_RTN_GET_DOORBELL)
	s_mov_b32 ttmp2, m0
	s_waitcnt lgkmcnt(0)
	s_and_b32 s0, s0, 0x3ff
	s_delay_alu instid0(SALU_CYCLE_1) | instskip(NEXT) | instid1(SALU_CYCLE_1)
	s_bitset1_b32 s0, 10
	s_mov_b32 m0, s0
	s_sendmsg sendmsg(MSG_INTERRUPT)
	s_mov_b32 m0, ttmp2
.LBB2_1978:                             ; =>This Inner Loop Header: Depth=1
	s_sethalt 5
	s_branch .LBB2_1978
.LBB2_1979:
	s_trap 2
	s_sendmsg_rtn_b32 s0, sendmsg(MSG_RTN_GET_DOORBELL)
	s_mov_b32 ttmp2, m0
	s_waitcnt lgkmcnt(0)
	s_and_b32 s0, s0, 0x3ff
	s_delay_alu instid0(SALU_CYCLE_1) | instskip(NEXT) | instid1(SALU_CYCLE_1)
	s_bitset1_b32 s0, 10
	s_mov_b32 m0, s0
	s_sendmsg sendmsg(MSG_INTERRUPT)
	s_mov_b32 m0, ttmp2
.LBB2_1980:                             ; =>This Inner Loop Header: Depth=1
	s_sethalt 5
	s_branch .LBB2_1980
.LBB2_1981:
	s_trap 2
	s_sendmsg_rtn_b32 s0, sendmsg(MSG_RTN_GET_DOORBELL)
	s_mov_b32 ttmp2, m0
	s_waitcnt lgkmcnt(0)
	s_and_b32 s0, s0, 0x3ff
	s_delay_alu instid0(SALU_CYCLE_1) | instskip(NEXT) | instid1(SALU_CYCLE_1)
	s_bitset1_b32 s0, 10
	s_mov_b32 m0, s0
	s_sendmsg sendmsg(MSG_INTERRUPT)
	s_mov_b32 m0, ttmp2
.LBB2_1982:                             ; =>This Inner Loop Header: Depth=1
	s_sethalt 5
	s_branch .LBB2_1982
.LBB2_1983:
	s_trap 2
	s_sendmsg_rtn_b32 s0, sendmsg(MSG_RTN_GET_DOORBELL)
	s_mov_b32 ttmp2, m0
	s_waitcnt lgkmcnt(0)
	s_and_b32 s0, s0, 0x3ff
	s_delay_alu instid0(SALU_CYCLE_1) | instskip(NEXT) | instid1(SALU_CYCLE_1)
	s_bitset1_b32 s0, 10
	s_mov_b32 m0, s0
	s_sendmsg sendmsg(MSG_INTERRUPT)
	s_mov_b32 m0, ttmp2
.LBB2_1984:                             ; =>This Inner Loop Header: Depth=1
	s_sethalt 5
	s_branch .LBB2_1984
.LBB2_1985:
	s_trap 2
	s_sendmsg_rtn_b32 s0, sendmsg(MSG_RTN_GET_DOORBELL)
	s_mov_b32 ttmp2, m0
	s_waitcnt lgkmcnt(0)
	s_and_b32 s0, s0, 0x3ff
	s_delay_alu instid0(SALU_CYCLE_1) | instskip(NEXT) | instid1(SALU_CYCLE_1)
	s_bitset1_b32 s0, 10
	s_mov_b32 m0, s0
	s_sendmsg sendmsg(MSG_INTERRUPT)
	s_mov_b32 m0, ttmp2
.LBB2_1986:                             ; =>This Inner Loop Header: Depth=1
	s_sethalt 5
	s_branch .LBB2_1986
.LBB2_1987:
	s_trap 2
	s_sendmsg_rtn_b32 s0, sendmsg(MSG_RTN_GET_DOORBELL)
	s_mov_b32 ttmp2, m0
	s_waitcnt lgkmcnt(0)
	s_and_b32 s0, s0, 0x3ff
	s_delay_alu instid0(SALU_CYCLE_1) | instskip(NEXT) | instid1(SALU_CYCLE_1)
	s_bitset1_b32 s0, 10
	s_mov_b32 m0, s0
	s_sendmsg sendmsg(MSG_INTERRUPT)
	s_mov_b32 m0, ttmp2
.LBB2_1988:                             ; =>This Inner Loop Header: Depth=1
	s_sethalt 5
	s_branch .LBB2_1988
.LBB2_1989:
	s_trap 2
	s_sendmsg_rtn_b32 s0, sendmsg(MSG_RTN_GET_DOORBELL)
	s_mov_b32 ttmp2, m0
	s_waitcnt lgkmcnt(0)
	s_and_b32 s0, s0, 0x3ff
	s_delay_alu instid0(SALU_CYCLE_1) | instskip(NEXT) | instid1(SALU_CYCLE_1)
	s_bitset1_b32 s0, 10
	s_mov_b32 m0, s0
	s_sendmsg sendmsg(MSG_INTERRUPT)
	s_mov_b32 m0, ttmp2
.LBB2_1990:                             ; =>This Inner Loop Header: Depth=1
	s_sethalt 5
	s_branch .LBB2_1990
.LBB2_1991:
	s_trap 2
	s_sendmsg_rtn_b32 s0, sendmsg(MSG_RTN_GET_DOORBELL)
	s_mov_b32 ttmp2, m0
	s_waitcnt lgkmcnt(0)
	s_and_b32 s0, s0, 0x3ff
	s_delay_alu instid0(SALU_CYCLE_1) | instskip(NEXT) | instid1(SALU_CYCLE_1)
	s_bitset1_b32 s0, 10
	s_mov_b32 m0, s0
	s_sendmsg sendmsg(MSG_INTERRUPT)
	s_mov_b32 m0, ttmp2
.LBB2_1992:                             ; =>This Inner Loop Header: Depth=1
	s_sethalt 5
	s_branch .LBB2_1992
.Lfunc_end2:
	.size	_ZN12_GLOBAL__N_17runRingIm14FuncSumPostDivImE11ProtoSimpleILi2ELi2ELi0ELi1ELi0ELi0EELi0ELi0ELi1ELi0EEEviiP15ncclDevWorkColl, .Lfunc_end2-_ZN12_GLOBAL__N_17runRingIm14FuncSumPostDivImE11ProtoSimpleILi2ELi2ELi0ELi1ELi0ELi0EELi0ELi0ELi1ELi0EEEviiP15ncclDevWorkColl
                                        ; -- End function
	.section	.AMDGPU.csdata,"",@progbits
; Function info:
; codeLenInByte = 89188
; NumSgprs: 45
; NumVgprs: 165
; ScratchSize: 80
; MemoryBound: 1
	.text
	.p2align	2                               ; -- Begin function _Z54ncclDevFunc_AllReduce_RING_SIMPLE_SumPostDiv_u64_0_0_1v
	.type	_Z54ncclDevFunc_AllReduce_RING_SIMPLE_SumPostDiv_u64_0_0_1v,@function
_Z54ncclDevFunc_AllReduce_RING_SIMPLE_SumPostDiv_u64_0_0_1v: ; @_Z54ncclDevFunc_AllReduce_RING_SIMPLE_SumPostDiv_u64_0_0_1v
; %bb.0:
	s_waitcnt vmcnt(0) expcnt(0) lgkmcnt(0)
	s_mov_b32 s0, s33
	s_mov_b32 s33, s32
	s_or_saveexec_b32 s1, -1
	scratch_store_b32 off, v40, s33 offset:8 ; 4-byte Folded Spill
	s_mov_b32 exec_lo, s1
	v_writelane_b32 v40, s0, 17
	s_add_i32 s32, s32, 16
	s_clause 0x1
	scratch_store_b32 off, v41, s33 offset:4
	; meta instruction
	scratch_store_b32 off, v42, s33
	v_writelane_b32 v40, s34, 0
	v_writelane_b32 v40, s35, 1
	;; [unrolled: 1-line block ×17, first 2 shown]
	s_cbranch_execnz .LBB3_7
; %bb.1:
	ds_load_b32 v0, v0
	v_and_b32_e32 v165, 0x3ff, v31
	s_mov_b32 s0, exec_lo
	s_waitcnt lgkmcnt(0)
	s_delay_alu instid0(VALU_DEP_1)
	v_cmpx_lt_i32_e64 v165, v0
	s_cbranch_execz .LBB3_9
; %bb.2:
	s_load_b32 s1, s[8:9], 0x0
	v_mov_b32_e32 v1, 0
	s_waitcnt lgkmcnt(0)
	s_cmp_lt_u32 s12, s1
	s_cselect_b32 s1, 12, 18
	s_delay_alu instid0(SALU_CYCLE_1)
	s_add_u32 s2, s8, s1
	s_addc_u32 s3, s9, 0
	s_mov_b32 s1, 0
	global_load_u16 v1, v1, s[2:3]
	s_cbranch_execnz .LBB3_24
; %bb.3:
	ds_load_b32 v2, v0
	v_mov_b32_e32 v3, v165
                                        ; implicit-def: $vgpr4
	s_waitcnt vmcnt(0) lgkmcnt(0)
	v_mul_lo_u32 v2, v2, v1
	s_branch .LBB3_5
	.p2align	6
.LBB3_4:                                ;   in Loop: Header=BB3_5 Depth=1
	s_or_b32 exec_lo, exec_lo, s2
	v_add_nc_u32_e32 v3, v3, v1
	v_add_nc_u32_e32 v4, v4, v2
	s_delay_alu instid0(VALU_DEP_2) | instskip(SKIP_1) | instid1(SALU_CYCLE_1)
	v_cmp_ge_i32_e32 vcc_lo, v3, v0
	s_or_b32 s1, vcc_lo, s1
	s_and_not1_b32 exec_lo, exec_lo, s1
	s_cbranch_execz .LBB3_9
.LBB3_5:                                ; =>This Inner Loop Header: Depth=1
	ds_load_b32 v5, v4
	s_mov_b32 s2, exec_lo
	s_waitcnt lgkmcnt(0)
	v_and_b32_e32 v5, 0x1000000, v5
	s_delay_alu instid0(VALU_DEP_1)
	v_cmpx_ne_u32_e32 0, v5
	s_cbranch_execz .LBB3_4
; %bb.6:                                ;   in Loop: Header=BB3_5 Depth=1
	ds_load_b64 v[5:6], v4 offset:104
	s_waitcnt lgkmcnt(0)
	flat_load_b64 v[5:6], v[5:6]
	s_waitcnt vmcnt(0) lgkmcnt(0)
	ds_store_b64 v4, v[5:6] offset:104
	s_branch .LBB3_4
.LBB3_7:
	s_trap 2
	s_sendmsg_rtn_b32 s0, sendmsg(MSG_RTN_GET_DOORBELL)
	s_mov_b32 ttmp2, m0
	s_waitcnt lgkmcnt(0)
	s_and_b32 s0, s0, 0x3ff
	s_delay_alu instid0(SALU_CYCLE_1) | instskip(NEXT) | instid1(SALU_CYCLE_1)
	s_bitset1_b32 s0, 10
	s_mov_b32 m0, s0
	s_sendmsg sendmsg(MSG_INTERRUPT)
	s_mov_b32 m0, ttmp2
.LBB3_8:                                ; =>This Inner Loop Header: Depth=1
	s_sethalt 5
	s_branch .LBB3_8
.LBB3_9:
	s_or_b32 exec_lo, exec_lo, s0
	s_waitcnt lgkmcnt(0)
	s_waitcnt_vscnt null, 0x0
	s_barrier
	buffer_gl0_inv
	s_cbranch_execnz .LBB3_22
; %bb.10:
	ds_load_b32 v0, v0
	s_waitcnt lgkmcnt(0)
	v_cmp_gt_i32_e32 vcc_lo, 1, v0
	s_cbranch_vccnz .LBB3_21
; %bb.11:
	s_mov_b32 s48, 0
	s_mov_b64 s[46:47], src_shared_base
.LBB3_12:                               ; =>This Inner Loop Header: Depth=1
	s_cbranch_execnz .LBB3_26
; %bb.13:                               ;   in Loop: Header=BB3_12 Depth=1
	ds_load_b32 v0, v0
	s_cmp_eq_u32 s48, 0
	s_cbranch_scc1 .LBB3_17
; %bb.14:                               ;   in Loop: Header=BB3_12 Depth=1
	s_cbranch_execnz .LBB3_30
; %bb.15:                               ;   in Loop: Header=BB3_12 Depth=1
	s_waitcnt lgkmcnt(0)
	ds_load_b32 v1, v0
	s_waitcnt lgkmcnt(0)
	v_xor_b32_e32 v1, v1, v0
	s_delay_alu instid0(VALU_DEP_1) | instskip(NEXT) | instid1(VALU_DEP_1)
	v_and_b32_e32 v1, 0xff0000, v1
	v_cmp_eq_u32_e32 vcc_lo, 0, v1
	s_cbranch_vccnz .LBB3_17
; %bb.16:                               ;   in Loop: Header=BB3_12 Depth=1
	s_waitcnt_vscnt null, 0x0
	s_barrier
	buffer_gl0_inv
	ds_load_b32 v0, v0
.LBB3_17:                               ;   in Loop: Header=BB3_12 Depth=1
	s_waitcnt lgkmcnt(0)
	v_lshrrev_b32_e32 v0, 11, v0
	s_mov_b32 s46, exec_lo
	s_delay_alu instid0(VALU_DEP_1) | instskip(NEXT) | instid1(VALU_DEP_1)
	v_and_b32_e32 v1, 0x1fe0, v0
	v_cmpx_lt_u32_e64 v165, v1
	s_cbranch_execz .LBB3_19
; %bb.18:                               ;   in Loop: Header=BB3_12 Depth=1
	v_dual_mov_b32 v166, v31 :: v_dual_mov_b32 v3, s47
	v_mov_b32_e32 v0, v165
	s_getpc_b64 s[0:1]
	s_add_u32 s0, s0, _ZN12_GLOBAL__N_17runRingIm14FuncSumPostDivImE11ProtoSimpleILi2ELi2ELi0ELi1ELi0ELi0EELi0ELi0ELi1ELi0EEEviiP15ncclDevWorkColl@rel32@lo+4
	s_addc_u32 s1, s1, _ZN12_GLOBAL__N_17runRingIm14FuncSumPostDivImE11ProtoSimpleILi2ELi2ELi0ELi1ELi0ELi0EELi0ELi0ELi1ELi0EEEviiP15ncclDevWorkColl@rel32@hi+12
	s_mov_b64 s[44:45], s[8:9]
	s_mov_b32 s43, s12
	s_swappc_b64 s[30:31], s[0:1]
	v_mov_b32_e32 v31, v166
	s_mov_b32 s12, s43
	s_mov_b64 s[8:9], s[44:45]
.LBB3_19:                               ;   in Loop: Header=BB3_12 Depth=1
	s_or_b32 exec_lo, exec_lo, s46
	s_cbranch_execnz .LBB3_28
; %bb.20:                               ;   in Loop: Header=BB3_12 Depth=1
	ds_load_b32 v0, v0
	s_add_i32 s48, s48, 1
	s_waitcnt lgkmcnt(0)
	v_cmp_lt_i32_e32 vcc_lo, s48, v0
	s_cbranch_vccnz .LBB3_12
.LBB3_21:
	s_clause 0x1
	scratch_load_b32 v42, off, s33
	scratch_load_b32 v41, off, s33 offset:4
	v_readlane_b32 s30, v40, 15
	v_readlane_b32 s31, v40, 16
	;; [unrolled: 1-line block ×18, first 2 shown]
	s_or_saveexec_b32 s1, -1
	scratch_load_b32 v40, off, s33 offset:8 ; 4-byte Folded Reload
	s_mov_b32 exec_lo, s1
	s_add_i32 s32, s32, -16
	s_mov_b32 s33, s0
	s_waitcnt vmcnt(0)
	s_setpc_b64 s[30:31]
.LBB3_22:
	s_trap 2
	s_sendmsg_rtn_b32 s0, sendmsg(MSG_RTN_GET_DOORBELL)
	s_mov_b32 ttmp2, m0
	s_waitcnt lgkmcnt(0)
	s_and_b32 s0, s0, 0x3ff
	s_delay_alu instid0(SALU_CYCLE_1) | instskip(NEXT) | instid1(SALU_CYCLE_1)
	s_bitset1_b32 s0, 10
	s_mov_b32 m0, s0
	s_sendmsg sendmsg(MSG_INTERRUPT)
	s_mov_b32 m0, ttmp2
.LBB3_23:                               ; =>This Inner Loop Header: Depth=1
	s_sethalt 5
	s_branch .LBB3_23
.LBB3_24:
	s_trap 2
	s_sendmsg_rtn_b32 s0, sendmsg(MSG_RTN_GET_DOORBELL)
	s_mov_b32 ttmp2, m0
	s_waitcnt lgkmcnt(0)
	s_and_b32 s0, s0, 0x3ff
	s_delay_alu instid0(SALU_CYCLE_1) | instskip(NEXT) | instid1(SALU_CYCLE_1)
	s_bitset1_b32 s0, 10
	s_mov_b32 m0, s0
	s_sendmsg sendmsg(MSG_INTERRUPT)
	s_mov_b32 m0, ttmp2
.LBB3_25:                               ; =>This Inner Loop Header: Depth=1
	s_sethalt 5
	s_branch .LBB3_25
.LBB3_26:
	s_trap 2
	s_sendmsg_rtn_b32 s0, sendmsg(MSG_RTN_GET_DOORBELL)
	s_mov_b32 ttmp2, m0
	s_waitcnt lgkmcnt(0)
	s_and_b32 s0, s0, 0x3ff
	s_delay_alu instid0(SALU_CYCLE_1) | instskip(NEXT) | instid1(SALU_CYCLE_1)
	s_bitset1_b32 s0, 10
	s_mov_b32 m0, s0
	s_sendmsg sendmsg(MSG_INTERRUPT)
	s_mov_b32 m0, ttmp2
.LBB3_27:                               ; =>This Inner Loop Header: Depth=1
	s_sethalt 5
	s_branch .LBB3_27
.LBB3_28:
	s_trap 2
	s_sendmsg_rtn_b32 s0, sendmsg(MSG_RTN_GET_DOORBELL)
	s_mov_b32 ttmp2, m0
	s_waitcnt lgkmcnt(0)
	s_and_b32 s0, s0, 0x3ff
	s_delay_alu instid0(SALU_CYCLE_1) | instskip(NEXT) | instid1(SALU_CYCLE_1)
	s_bitset1_b32 s0, 10
	s_mov_b32 m0, s0
	s_sendmsg sendmsg(MSG_INTERRUPT)
	s_mov_b32 m0, ttmp2
.LBB3_29:                               ; =>This Inner Loop Header: Depth=1
	s_sethalt 5
	s_branch .LBB3_29
.LBB3_30:
	s_trap 2
	s_sendmsg_rtn_b32 s0, sendmsg(MSG_RTN_GET_DOORBELL)
	s_mov_b32 ttmp2, m0
	s_waitcnt lgkmcnt(0)
	s_and_b32 s0, s0, 0x3ff
	s_delay_alu instid0(SALU_CYCLE_1) | instskip(NEXT) | instid1(SALU_CYCLE_1)
	s_bitset1_b32 s0, 10
	s_mov_b32 m0, s0
	s_sendmsg sendmsg(MSG_INTERRUPT)
	s_mov_b32 m0, ttmp2
.LBB3_31:                               ; =>This Inner Loop Header: Depth=1
	s_sethalt 5
	s_branch .LBB3_31
.Lfunc_end3:
	.size	_Z54ncclDevFunc_AllReduce_RING_SIMPLE_SumPostDiv_u64_0_0_1v, .Lfunc_end3-_Z54ncclDevFunc_AllReduce_RING_SIMPLE_SumPostDiv_u64_0_0_1v
                                        ; -- End function
	.section	.AMDGPU.csdata,"",@progbits
; Function info:
; codeLenInByte = 1200
; NumSgprs: 51
; NumVgprs: 167
; ScratchSize: 96
; MemoryBound: 0
	.text
	.p2align	2                               ; -- Begin function _ZN12_GLOBAL__N_17runRingIm14FuncSumPostDivImE11ProtoSimpleILi2ELi2ELi0ELi2ELi0ELi0EELi0ELi0ELi2ELi0EEEviiP15ncclDevWorkColl
	.type	_ZN12_GLOBAL__N_17runRingIm14FuncSumPostDivImE11ProtoSimpleILi2ELi2ELi0ELi2ELi0ELi0EELi0ELi0ELi2ELi0EEEviiP15ncclDevWorkColl,@function
_ZN12_GLOBAL__N_17runRingIm14FuncSumPostDivImE11ProtoSimpleILi2ELi2ELi0ELi2ELi0ELi0EELi0ELi0ELi2ELi0EEEviiP15ncclDevWorkColl: ; @_ZN12_GLOBAL__N_17runRingIm14FuncSumPostDivImE11ProtoSimpleILi2ELi2ELi0ELi2ELi0ELi0EELi0ELi0ELi2ELi0EEEviiP15ncclDevWorkColl
; %bb.0:
	s_waitcnt vmcnt(0) expcnt(0) lgkmcnt(0)
	s_mov_b32 s0, s33
	s_mov_b32 s33, s32
	s_or_saveexec_b32 s1, -1
	s_clause 0x1
	scratch_store_b32 off, v41, s33 offset:4
	; meta instruction
	scratch_store_b32 off, v42, s33 offset:8
	s_mov_b32 exec_lo, s1
	v_writelane_b32 v41, s0, 14
	s_add_i32 s32, s32, 16
	scratch_store_b32 off, v40, s33         ; 4-byte Folded Spill
	v_writelane_b32 v41, s34, 0
	v_writelane_b32 v41, s35, 1
	;; [unrolled: 1-line block ×14, first 2 shown]
	s_cbranch_execnz .LBB4_1451
; %bb.1:
	flat_load_b32 v7, v[2:3]
	ds_load_b32 v6, v0
	s_mov_b32 s0, exec_lo
                                        ; implicit-def: $vgpr32_vgpr33
                                        ; implicit-def: $vgpr14_vgpr15
                                        ; implicit-def: $vgpr4_vgpr5
	s_waitcnt lgkmcnt(0)
	v_readfirstlane_b32 s25, v6
	s_waitcnt vmcnt(0)
	v_and_b32_e32 v8, 0xff, v7
	s_delay_alu instid0(VALU_DEP_1)
	v_cmpx_ne_u32_e64 v8, v6
	s_xor_b32 s0, exec_lo, s0
	s_cbranch_execz .LBB4_1453
; %bb.2:
	v_bfe_u32 v9, v7, 8, 8
	v_not_b32_e32 v8, v8
	s_mov_b32 s1, exec_lo
                                        ; implicit-def: $vgpr32_vgpr33
                                        ; implicit-def: $vgpr14_vgpr15
                                        ; implicit-def: $vgpr4_vgpr5
	s_delay_alu instid0(VALU_DEP_2)
	v_cmpx_ne_u32_e64 v9, v6
	s_xor_b32 s1, exec_lo, s1
	s_cbranch_execz .LBB4_4
; %bb.3:
	s_clause 0x1
	flat_load_b128 v[9:12], v[2:3] offset:72
	flat_load_b64 v[4:5], v[2:3] offset:96
	v_add_nc_u32_e32 v6, v6, v8
                                        ; implicit-def: $vgpr8
	s_waitcnt vmcnt(0) lgkmcnt(0)
	v_lshrrev_b64 v[32:33], 15, v[4:5]
	v_dual_mov_b32 v4, v11 :: v_dual_mov_b32 v5, v12
	s_delay_alu instid0(VALU_DEP_3) | instskip(SKIP_2) | instid1(VALU_DEP_3)
	v_ashrrev_i32_e32 v7, 31, v6
	v_mad_u64_u32 v[14:15], null, v11, v6, v[9:10]
	v_mul_lo_u32 v6, v12, v6
                                        ; implicit-def: $vgpr9
	v_mul_lo_u32 v7, v11, v7
	s_delay_alu instid0(VALU_DEP_1)
	v_add3_u32 v15, v6, v15, v7
.LBB4_4:
	s_and_not1_saveexec_b32 s1, s1
	s_cbranch_execz .LBB4_6
; %bb.5:
	s_clause 0x1
	flat_load_b128 v[10:13], v[2:3] offset:72
	flat_load_b128 v[4:7], v[2:3] offset:88
	s_waitcnt vmcnt(0) lgkmcnt(0)
	v_add_nc_u32_e32 v6, v9, v8
	s_delay_alu instid0(VALU_DEP_1) | instskip(NEXT) | instid1(VALU_DEP_1)
	v_ashrrev_i32_e32 v8, 31, v6
	v_mul_lo_u32 v8, v12, v8
	v_mad_u64_u32 v[14:15], null, v12, v6, v[10:11]
	v_mul_lo_u32 v6, v13, v6
	v_lshrrev_b32_e32 v32, 4, v7
	s_delay_alu instid0(VALU_DEP_2)
	v_add3_u32 v15, v6, v15, v8
.LBB4_6:
	s_or_b32 exec_lo, exec_lo, s1
	s_and_not1_saveexec_b32 s0, s0
	s_cbranch_execnz .LBB4_1454
.LBB4_7:
	s_or_b32 exec_lo, exec_lo, s0
	s_cbranch_execnz .LBB4_1455
.LBB4_8:
	ds_load_b64 v[6:7], v0
	s_mov_b32 s1, exec_lo
	s_waitcnt lgkmcnt(0)
	v_cmp_ne_u32_e32 vcc_lo, -1, v6
	v_cndmask_b32_e64 v35, 0, 1, vcc_lo
	v_cmp_ne_u32_e32 vcc_lo, -1, v7
	s_delay_alu instid0(VALU_DEP_2) | instskip(NEXT) | instid1(VALU_DEP_1)
	v_add_co_ci_u32_e64 v8, s0, 0, v35, vcc_lo
	v_lshlrev_b32_e32 v6, 1, v8
	s_delay_alu instid0(VALU_DEP_1)
	v_cmpx_le_i32_e64 v6, v1
	s_xor_b32 s24, exec_lo, s1
	s_cbranch_execz .LBB4_1698
; %bb.9:
	s_clause 0x3
	flat_load_b64 v[33:34], v[2:3] offset:104
	flat_load_b128 v[10:13], v[2:3] offset:16
	flat_load_u16 v7, v[2:3] offset:8
	flat_load_b32 v6, v[2:3] offset:4
	s_cbranch_execnz .LBB4_1457
; %bb.10:
	s_load_b32 s0, s[8:9], 0x0
	v_dual_mov_b32 v9, 0 :: v_dual_mov_b32 v30, 4
	s_waitcnt lgkmcnt(0)
	s_cmp_lt_u32 s12, s0
	s_cselect_b32 s0, 12, 18
	s_delay_alu instid0(SALU_CYCLE_1)
	s_add_u32 s0, s8, s0
	s_addc_u32 s1, s9, 0
	global_load_u16 v36, v9, s[0:1]
	ds_load_b32 v9, v0
	s_mov_b32 s1, exec_lo
	s_waitcnt lgkmcnt(0)
	v_readfirstlane_b32 s5, v9
	v_cmpx_ge_i32_e64 v0, v35
	s_cbranch_execz .LBB4_20
; %bb.11:
	v_cmp_le_u32_e64 s0, v8, v0
                                        ; implicit-def: $vgpr30
	s_delay_alu instid0(VALU_DEP_1) | instskip(NEXT) | instid1(SALU_CYCLE_1)
	s_and_saveexec_b32 s2, s0
	s_xor_b32 s0, exec_lo, s2
	s_cbranch_execz .LBB4_17
; %bb.12:
	v_cndmask_b32_e64 v9, 0, 1, vcc_lo
	s_mov_b32 s2, exec_lo
                                        ; implicit-def: $sgpr3
	s_delay_alu instid0(VALU_DEP_1) | instskip(NEXT) | instid1(VALU_DEP_1)
	v_sub_nc_u32_e32 v9, v1, v9
	v_cmpx_ge_u32_e64 v0, v9
	s_xor_b32 s2, exec_lo, s2
; %bb.13:
	s_mov_b32 s3, 16
                                        ; implicit-def: $vgpr8
; %bb.14:
	s_or_saveexec_b32 s2, s2
	v_mov_b32_e32 v30, s3
	s_xor_b32 exec_lo, exec_lo, s2
; %bb.15:
	v_sub_nc_u32_e32 v8, v1, v8
	s_delay_alu instid0(VALU_DEP_1) | instskip(SKIP_1) | instid1(VALU_DEP_1)
	v_cmp_ge_i32_e32 vcc_lo, v0, v8
	v_cndmask_b32_e64 v8, 0, 1, vcc_lo
	v_lshlrev_b32_e32 v30, 5, v8
; %bb.16:
	s_or_b32 exec_lo, exec_lo, s2
.LBB4_17:
	s_and_not1_saveexec_b32 s0, s0
; %bb.18:
	v_mov_b32_e32 v30, 8
; %bb.19:
	s_or_b32 exec_lo, exec_lo, s0
.LBB4_20:
	s_delay_alu instid0(SALU_CYCLE_1) | instskip(NEXT) | instid1(VALU_DEP_1)
	s_or_b32 exec_lo, exec_lo, s1
	v_and_b32_e32 v8, 36, v30
	s_delay_alu instid0(VALU_DEP_1)
	v_cmp_ne_u32_e32 vcc_lo, 0, v8
	v_mov_b32_e32 v8, -1
	s_and_saveexec_b32 s0, vcc_lo
	s_cbranch_execz .LBB4_23
; %bb.21:
	s_cbranch_execnz .LBB4_1459
; %bb.22:
	ds_load_b32 v8, v0
.LBB4_23:
	s_or_b32 exec_lo, exec_lo, s0
	v_and_b32_e32 v9, 24, v30
	s_mov_b32 s1, exec_lo
	s_delay_alu instid0(VALU_DEP_1)
	v_cmpx_ne_u32_e32 0, v9
	s_cbranch_execz .LBB4_26
; %bb.24:
	s_cbranch_execnz .LBB4_1461
; %bb.25:
	s_waitcnt lgkmcnt(0)
	ds_load_b32 v8, v0
.LBB4_26:
	s_or_b32 exec_lo, exec_lo, s1
	s_waitcnt vmcnt(1)
	v_lshrrev_b64 v[6:7], 31, v[6:7]
	v_mov_b32_e32 v18, 0
	v_mov_b32_e32 v19, 0
                                        ; implicit-def: $vgpr16_vgpr17
                                        ; implicit-def: $vgpr84
                                        ; implicit-def: $vgpr22_vgpr23
                                        ; implicit-def: $vgpr24_vgpr25
                                        ; implicit-def: $vgpr28_vgpr29
                                        ; implicit-def: $vgpr20_vgpr21
	s_delay_alu instid0(VALU_DEP_2) | instskip(NEXT) | instid1(VALU_DEP_2)
	v_dual_mov_b32 v6, v18 :: v_dual_and_b32 v37, 3, v6
	v_mov_b32_e32 v7, v19
	s_and_saveexec_b32 s0, vcc_lo
	s_cbranch_execz .LBB4_39
; %bb.27:
	s_cbranch_execnz .LBB4_1463
; %bb.28:
	ds_load_b64 v[6:7], v0
	s_waitcnt lgkmcnt(1)
	v_ashrrev_i32_e32 v9, 31, v8
	s_mov_b32 s1, exec_lo
	s_delay_alu instid0(VALU_DEP_1) | instskip(SKIP_2) | instid1(VALU_DEP_2)
	v_lshlrev_b64 v[16:17], 3, v[8:9]
	v_and_b32_e32 v9, 0xffff, v37
	s_waitcnt lgkmcnt(0)
	v_add_co_u32 v6, vcc_lo, v6, v16
	s_delay_alu instid0(VALU_DEP_3)
	v_add_co_ci_u32_e32 v7, vcc_lo, v7, v17, vcc_lo
	flat_load_b64 v[6:7], v[6:7]
	s_waitcnt vmcnt(0) lgkmcnt(0)
	v_mad_u64_u32 v[16:17], null, 0xa8, v9, v[6:7]
	flat_load_b32 v6, v[16:17] offset:640
	v_add_co_u32 v18, vcc_lo, 0x1f8, v16
	v_add_co_ci_u32_e32 v19, vcc_lo, 0, v17, vcc_lo
                                        ; implicit-def: $vgpr16_vgpr17
	s_waitcnt vmcnt(0) lgkmcnt(0)
	v_cmpx_eq_u32_e32 1, v6
	s_cbranch_execz .LBB4_31
; %bb.29:
	flat_load_b64 v[16:17], v[18:19] offset:144
	s_waitcnt vmcnt(0) lgkmcnt(0)
	flat_load_b64 v[6:7], v[16:17]
	s_cbranch_execnz .LBB4_1471
; %bb.30:
	s_waitcnt vmcnt(0) lgkmcnt(0)
	ds_store_b64 v0, v[6:7]
	flat_load_b64 v[6:7], v[16:17] offset:8
	v_or_b32_e32 v30, 0x2000, v30
	s_waitcnt vmcnt(0) lgkmcnt(0)
	ds_store_b64 v0, v[6:7]
	flat_load_b64 v[6:7], v[16:17] offset:16
	s_waitcnt vmcnt(0) lgkmcnt(0)
	ds_store_b64 v0, v[6:7]
.LBB4_31:
	s_or_b32 exec_lo, exec_lo, s1
	flat_load_b64 v[6:7], v[18:19] offset:104
	v_and_b32_e32 v9, 32, v30
	s_mov_b32 s1, exec_lo
                                        ; implicit-def: $vgpr20_vgpr21
	s_waitcnt vmcnt(0) lgkmcnt(0)
	v_add_co_u32 v6, vcc_lo, v6, 3
	v_add_co_ci_u32_e32 v23, vcc_lo, 0, v7, vcc_lo
	s_delay_alu instid0(VALU_DEP_2)
	v_and_b32_e32 v22, -4, v6
	v_cmpx_ne_u32_e32 0, v9
	s_cbranch_execz .LBB4_33
; %bb.32:
	flat_load_b64 v[20:21], v[18:19] offset:56
	s_waitcnt vmcnt(0) lgkmcnt(0)
	s_waitcnt_vscnt null, 0x0
	flat_store_b64 v[20:21], v[22:23]
.LBB4_33:
	s_or_b32 exec_lo, exec_lo, s1
	v_dual_mov_b32 v6, 0 :: v_dual_and_b32 v9, 4, v30
	v_mov_b32_e32 v7, 0
	s_mov_b32 s1, exec_lo
                                        ; implicit-def: $vgpr84
                                        ; implicit-def: $vgpr24_vgpr25
                                        ; implicit-def: $vgpr28_vgpr29
	s_delay_alu instid0(VALU_DEP_2)
	v_cmpx_ne_u32_e32 0, v9
	s_cbranch_execz .LBB4_38
; %bb.34:
	v_and_b32_e32 v6, 0x800, v30
	s_mov_b32 s2, exec_lo
	s_delay_alu instid0(VALU_DEP_1)
	v_cmpx_eq_u32_e32 0, v6
	s_cbranch_execz .LBB4_37
; %bb.35:
	s_cbranch_execnz .LBB4_1473
; %bb.36:
	ds_store_b64 v0, v[18:19]
.LBB4_37:
	s_or_b32 exec_lo, exec_lo, s2
	flat_load_b64 v[20:21], v[18:19] offset:48
	v_or_b32_e32 v26, 0x100, v30
	s_waitcnt vmcnt(0) lgkmcnt(0)
	flat_load_b64 v[28:29], v[20:21] glc
	s_clause 0x2
	flat_load_b32 v9, v[18:19] offset:72
	flat_load_b64 v[6:7], v[18:19] offset:96
	flat_load_b64 v[24:25], v[18:19] offset:16
	s_waitcnt vmcnt(2) lgkmcnt(2)
	v_ashrrev_i32_e32 v84, 3, v9
	s_waitcnt vmcnt(1) lgkmcnt(1)
	v_cmp_eq_u64_e32 vcc_lo, 0, v[6:7]
	v_cndmask_b32_e32 v30, v26, v30, vcc_lo
.LBB4_38:
	s_or_b32 exec_lo, exec_lo, s1
.LBB4_39:
	s_delay_alu instid0(SALU_CYCLE_1) | instskip(NEXT) | instid1(VALU_DEP_1)
	s_or_b32 exec_lo, exec_lo, s0
	v_and_b32_e32 v9, 24, v30
	s_mov_b32 s0, exec_lo
                                        ; implicit-def: $vgpr26_vgpr27
	s_delay_alu instid0(VALU_DEP_1)
	v_cmpx_ne_u32_e32 0, v9
	s_cbranch_execz .LBB4_49
; %bb.40:
	s_cbranch_execnz .LBB4_1465
; %bb.41:
	ds_load_b64 v[6:7], v0
	s_waitcnt lgkmcnt(1)
	v_ashrrev_i32_e32 v9, 31, v8
	v_or_b32_e32 v22, 0x100, v30
	s_mov_b32 s1, exec_lo
                                        ; implicit-def: $vgpr26_vgpr27
	s_delay_alu instid0(VALU_DEP_2) | instskip(SKIP_1) | instid1(VALU_DEP_1)
	v_lshlrev_b64 v[8:9], 3, v[8:9]
	s_waitcnt lgkmcnt(0)
	v_add_co_u32 v6, vcc_lo, v6, v8
	s_delay_alu instid0(VALU_DEP_2)
	v_add_co_ci_u32_e32 v7, vcc_lo, v7, v9, vcc_lo
	v_and_b32_e32 v8, 0xffff, v37
	flat_load_b64 v[6:7], v[6:7]
	s_waitcnt vmcnt(0) lgkmcnt(0)
	v_mad_u64_u32 v[18:19], null, 0xa8, v8, v[6:7]
	flat_load_b128 v[6:9], v[18:19] offset:96
	s_waitcnt vmcnt(0) lgkmcnt(0)
	v_cmp_eq_u64_e32 vcc_lo, 0, v[6:7]
	v_cndmask_b32_e32 v30, v22, v30, vcc_lo
	s_delay_alu instid0(VALU_DEP_1) | instskip(NEXT) | instid1(VALU_DEP_1)
	v_and_b32_e32 v22, 16, v30
	v_cmpx_ne_u32_e32 0, v22
; %bb.42:
	s_clause 0x2
	flat_load_b64 v[26:27], v[18:19] offset:120
	flat_load_b64 v[20:21], v[18:19] offset:48
	;; [unrolled: 1-line block ×3, first 2 shown]
; %bb.43:
	s_or_b32 exec_lo, exec_lo, s1
	v_and_b32_e32 v22, 8, v30
	s_mov_b32 s1, exec_lo
	s_delay_alu instid0(VALU_DEP_1)
	v_cmpx_ne_u32_e32 0, v22
	s_cbranch_execz .LBB4_48
; %bb.44:
	s_waitcnt vmcnt(1) lgkmcnt(1)
	v_and_b32_e32 v20, 0x800, v30
	s_mov_b32 s2, exec_lo
	s_delay_alu instid0(VALU_DEP_1)
	v_cmpx_eq_u32_e32 0, v20
	s_cbranch_execz .LBB4_47
; %bb.45:
	s_cbranch_execnz .LBB4_1475
; %bb.46:
	ds_store_b64 v0, v[18:19]
.LBB4_47:
	s_or_b32 exec_lo, exec_lo, s2
	flat_load_b64 v[20:21], v[18:19] offset:56
	s_waitcnt vmcnt(0) lgkmcnt(0)
	flat_load_b64 v[28:29], v[20:21] glc
	s_clause 0x1
	flat_load_b32 v22, v[18:19] offset:72
	flat_load_b64 v[24:25], v[18:19] offset:16
	s_waitcnt vmcnt(1) lgkmcnt(1)
	v_ashrrev_i32_e32 v84, 3, v22
.LBB4_48:
	s_or_b32 exec_lo, exec_lo, s1
	v_add_co_u32 v8, vcc_lo, v8, 3
	v_add_co_ci_u32_e32 v23, vcc_lo, 0, v9, vcc_lo
	s_delay_alu instid0(VALU_DEP_2)
	v_and_b32_e32 v22, -4, v8
.LBB4_49:
	s_or_b32 exec_lo, exec_lo, s0
	v_cmp_eq_u32_e64 s0, 0, v0
	s_delay_alu instid0(VALU_DEP_1)
	s_and_saveexec_b32 s1, s0
	s_cbranch_execz .LBB4_52
; %bb.50:
	s_waitcnt lgkmcnt(0)
	flat_load_b64 v[8:9], v[2:3] offset:32
	ds_store_2addr_b64 v0, v[12:13], v[10:11] offset1:1
	s_cbranch_execnz .LBB4_1467
; %bb.51:
	s_waitcnt vmcnt(0) lgkmcnt(1)
	ds_store_b64 v0, v[8:9]
	ds_store_b64 v0, v[33:34]
.LBB4_52:
	s_or_b32 exec_lo, exec_lo, s1
	s_waitcnt vmcnt(0)
	v_dual_mov_b32 v12, 0 :: v_dual_and_b32 v71, 0xffff, v36
	v_mov_b32_e32 v13, 0
	s_mov_b32 s26, exec_lo
	v_cmpx_lt_i64_e32 0, v[4:5]
	s_cbranch_execz .LBB4_1446
; %bb.53:
	s_waitcnt lgkmcnt(0)
	flat_load_b32 v8, v[2:3] offset:4
	v_dual_mov_b32 v3, 0 :: v_dual_and_b32 v2, 31, v31
	s_ashr_i32 s27, s25, 31
	s_add_u32 s28, s25, -1
	s_addc_u32 s29, s27, -1
	s_not_b32 s2, s25
	v_cmp_ge_i32_e32 vcc_lo, v0, v1
	v_cmp_eq_u32_e64 s1, 0, v2
	s_cmp_gt_i32 s25, 0
	s_mov_b32 s39, 0
	s_cselect_b32 s3, s2, -1
	s_cbranch_execnz .LBB4_1469
; %bb.54:
	v_ashrrev_i32_e32 v9, 31, v0
	s_ashr_i32 s6, s5, 31
	v_lshrrev_b32_e32 v86, 5, v1
	s_lshr_b32 s6, s6, 29
	v_and_b32_e32 v2, 0x7ffffc0, v32
	v_lshrrev_b32_e32 v9, 27, v9
	s_add_i32 s5, s5, s6
	s_add_i32 vcc_hi, s25, s25
	s_waitcnt vmcnt(0) lgkmcnt(0)
	v_and_b32_e32 v8, 1, v8
	s_add_i32 s20, s3, vcc_hi
	v_add_nc_u32_e32 v9, v0, v9
	s_ashr_i32 s3, s5, 6
	s_ashr_i32 s30, s20, 31
	s_lshr_b32 s5, s3, 28
	v_cmp_eq_u64_e64 s10, 0, v[26:27]
	v_dual_mov_b32 v131, 1 :: v_dual_and_b32 v10, 0xffffffe0, v9
	s_add_i32 s3, s3, s5
	v_cmp_ne_u64_e64 s11, 0, v[26:27]
	s_ashr_i32 s31, s3, 4
	s_delay_alu instid0(VALU_DEP_2)
	v_sub_nc_u32_e32 v96, v0, v10
	v_lshl_add_u32 v10, v86, 11, 0xfffff800
	s_cmp_gt_i32 s25, 2
	v_ashrrev_i32_e32 v85, 31, v84
	s_cselect_b32 s34, -1, 0
	v_cmp_lt_i32_e64 s6, v96, v35
	v_cmp_le_i32_e64 s15, v96, v35
	v_mov_b32_e32 v34, 0
	v_ashrrev_i32_e32 v87, 5, v9
	v_dual_mov_b32 v35, 0 :: v_dual_lshlrev_b32 v98, 9, v86
	v_mov_b32_e32 v37, v3
	s_delay_alu instid0(VALU_DEP_4) | instskip(NEXT) | instid1(VALU_DEP_4)
	v_dual_mov_b32 v12, v34 :: v_dual_lshlrev_b32 v101, 8, v86
	v_dual_mov_b32 v36, v2 :: v_dual_lshlrev_b32 v9, 11, v87
	s_delay_alu instid0(VALU_DEP_4) | instskip(NEXT) | instid1(VALU_DEP_3)
	v_dual_mov_b32 v13, v35 :: v_dual_add_nc_u32 v100, 0xfffffe00, v98
	v_add_nc_u32_e32 v113, 0xffffff00, v101
	s_delay_alu instid0(VALU_DEP_3) | instskip(SKIP_4) | instid1(VALU_DEP_4)
	v_lshl_add_u32 v97, v96, 4, v9
	v_ashrrev_i32_e32 v9, 31, v10
	v_add_co_u32 v102, s7, 0x800, v10
	v_ashrrev_i32_e32 v112, 31, v100
	v_ashrrev_i32_e32 v116, 31, v113
	v_add_co_ci_u32_e64 v103, s7, 0, v9, s7
	v_add_co_u32 v114, s7, 0x200, v100
	s_delay_alu instid0(VALU_DEP_1) | instskip(SKIP_1) | instid1(VALU_DEP_1)
	v_add_co_ci_u32_e64 v115, s7, 0, v112, s7
	v_add_co_u32 v117, s7, 0x100, v113
	v_add_co_ci_u32_e64 v118, s7, 0, v116, s7
	v_lshlrev_b32_e32 v9, 10, v87
	v_cmp_eq_u32_e64 s7, 1, v8
	v_lshl_add_u32 v8, v86, 10, 0xfffffc00
	s_add_i32 s3, s25, 1
	v_mad_i64_i32 v[32:33], null, v2, s25, 0
	v_sub_nc_u32_e32 v119, v97, v9
	s_delay_alu instid0(VALU_DEP_3)
	v_ashrrev_i32_e32 v9, 31, v8
	s_xor_b32 s35, s7, -1
	s_cmp_le_i32 s25, s3
	v_add_co_u32 v129, s13, 0x400, v8
	s_cselect_b32 s12, s25, 0
	v_cmp_eq_u32_e64 s2, 32, v1
	v_cmp_ne_u32_e64 s38, 32, v1
	v_cmp_ne_u32_e64 s4, v71, v1
	v_cmp_gt_i32_e64 s5, 1, v96
	v_ashrrev_i32_e32 v99, 31, v97
	v_ashrrev_i32_e32 v128, 31, v119
	v_add_co_ci_u32_e64 v130, s13, 0, v9, s13
	s_sub_i32 s18, s3, s12
	s_add_i32 s36, s25, -2
	s_ashr_i32 s23, s18, 31
	s_xor_b32 s22, vcc_lo, -1
	s_brev_b32 s21, 1
	s_sub_i32 s37, 0, s25
	s_mov_b32 s14, 0
                                        ; implicit-def: $vgpr42 : SGPR spill to VGPR lane
	v_writelane_b32 v42, s15, 0
.LBB4_55:                               ; =>This Loop Header: Depth=1
                                        ;     Child Loop BB4_63 Depth 2
                                        ;       Child Loop BB4_72 Depth 3
                                        ;       Child Loop BB4_101 Depth 3
	;; [unrolled: 1-line block ×9, first 2 shown]
                                        ;     Child Loop BB4_229 Depth 2
                                        ;       Child Loop BB4_235 Depth 3
                                        ;       Child Loop BB4_264 Depth 3
	;; [unrolled: 1-line block ×3, first 2 shown]
                                        ;     Child Loop BB4_312 Depth 2
                                        ;       Child Loop BB4_314 Depth 3
                                        ;         Child Loop BB4_323 Depth 4
                                        ;         Child Loop BB4_355 Depth 4
	;; [unrolled: 1-line block ×9, first 2 shown]
                                        ;       Child Loop BB4_483 Depth 3
                                        ;         Child Loop BB4_489 Depth 4
                                        ;         Child Loop BB4_519 Depth 4
	;; [unrolled: 1-line block ×3, first 2 shown]
                                        ;     Child Loop BB4_568 Depth 2
                                        ;       Child Loop BB4_577 Depth 3
                                        ;       Child Loop BB4_609 Depth 3
                                        ;       Child Loop BB4_632 Depth 3
                                        ;       Child Loop BB4_666 Depth 3
                                        ;       Child Loop BB4_677 Depth 3
                                        ;         Child Loop BB4_678 Depth 4
                                        ;       Child Loop BB4_694 Depth 3
                                        ;       Child Loop BB4_705 Depth 3
                                        ;         Child Loop BB4_706 Depth 4
                                        ;       Child Loop BB4_728 Depth 3
                                        ;       Child Loop BB4_739 Depth 3
	;; [unrolled: 1-line block ×6, first 2 shown]
                                        ;     Child Loop BB4_824 Depth 2
                                        ;       Child Loop BB4_830 Depth 3
                                        ;       Child Loop BB4_862 Depth 3
	;; [unrolled: 1-line block ×3, first 2 shown]
                                        ;     Child Loop BB4_910 Depth 2
                                        ;       Child Loop BB4_912 Depth 3
                                        ;         Child Loop BB4_921 Depth 4
                                        ;         Child Loop BB4_951 Depth 4
	;; [unrolled: 1-line block ×5, first 2 shown]
                                        ;           Child Loop BB4_1006 Depth 5
                                        ;         Child Loop BB4_1017 Depth 4
                                        ;         Child Loop BB4_1023 Depth 4
                                        ;           Child Loop BB4_1024 Depth 5
                                        ;         Child Loop BB4_1038 Depth 4
                                        ;         Child Loop BB4_1044 Depth 4
	;; [unrolled: 1-line block ×6, first 2 shown]
                                        ;       Child Loop BB4_1119 Depth 3
                                        ;         Child Loop BB4_1125 Depth 4
                                        ;         Child Loop BB4_1155 Depth 4
	;; [unrolled: 1-line block ×3, first 2 shown]
                                        ;     Child Loop BB4_1205 Depth 2
                                        ;       Child Loop BB4_1214 Depth 3
                                        ;       Child Loop BB4_1241 Depth 3
	;; [unrolled: 1-line block ×9, first 2 shown]
                                        ;     Child Loop BB4_1367 Depth 2
                                        ;       Child Loop BB4_1373 Depth 3
                                        ;       Child Loop BB4_1400 Depth 3
	;; [unrolled: 1-line block ×3, first 2 shown]
	v_sub_co_u32 v38, vcc_lo, v4, v34
	v_sub_co_ci_u32_e32 v39, vcc_lo, v5, v35, vcc_lo
	s_mov_b32 s12, exec_lo
	s_delay_alu instid0(VALU_DEP_1)
	v_cmpx_lt_i64_e64 v[38:39], v[32:33]
	s_cbranch_execz .LBB4_61
; %bb.56:                               ;   in Loop: Header=BB4_55 Depth=1
	v_add_co_u32 v2, vcc_lo, s28, v38
	v_add_co_ci_u32_e32 v10, vcc_lo, s29, v39, vcc_lo
	v_mov_b32_e32 v8, v3
	s_delay_alu instid0(VALU_DEP_2) | instskip(NEXT) | instid1(VALU_DEP_1)
	v_or_b32_e32 v9, s27, v10
	v_cmp_ne_u64_e32 vcc_lo, 0, v[8:9]
                                        ; implicit-def: $vgpr8_vgpr9
	s_and_saveexec_b32 s3, vcc_lo
	s_delay_alu instid0(SALU_CYCLE_1)
	s_xor_b32 s13, exec_lo, s3
	s_cbranch_execz .LBB4_58
; %bb.57:                               ;   in Loop: Header=BB4_55 Depth=1
	s_add_u32 s16, s25, s27
	s_mov_b32 s19, s38
	s_mov_b32 s38, s14
	;; [unrolled: 1-line block ×4, first 2 shown]
	s_addc_u32 s17, s27, s27
	s_mov_b32 s3, s4
	s_xor_b64 s[16:17], s[16:17], s[14:15]
	s_mov_b32 s4, s2
	v_cvt_f32_u32_e32 v8, s16
	v_cvt_f32_u32_e32 v9, s17
	s_sub_u32 s40, 0, s16
	s_subb_u32 s41, 0, s17
	s_mov_b32 s2, s4
	s_mov_b32 s4, s3
	v_fmac_f32_e32 v8, 0x4f800000, v9
	s_delay_alu instid0(VALU_DEP_1) | instskip(SKIP_2) | instid1(VALU_DEP_1)
	v_rcp_f32_e32 v8, v8
	s_waitcnt_depctr 0xfff
	v_mul_f32_e32 v8, 0x5f7ffffc, v8
	v_mul_f32_e32 v9, 0x2f800000, v8
	s_delay_alu instid0(VALU_DEP_1) | instskip(NEXT) | instid1(VALU_DEP_1)
	v_trunc_f32_e32 v9, v9
	v_fmac_f32_e32 v8, 0xcf800000, v9
	v_cvt_u32_f32_e32 v9, v9
	s_delay_alu instid0(VALU_DEP_2) | instskip(NEXT) | instid1(VALU_DEP_2)
	v_cvt_u32_f32_e32 v8, v8
	v_mul_lo_u32 v11, s40, v9
	s_delay_alu instid0(VALU_DEP_2) | instskip(SKIP_1) | instid1(VALU_DEP_2)
	v_mul_hi_u32 v36, s40, v8
	v_mul_lo_u32 v37, s41, v8
	v_add_nc_u32_e32 v11, v36, v11
	v_mul_lo_u32 v36, s40, v8
	s_delay_alu instid0(VALU_DEP_2) | instskip(NEXT) | instid1(VALU_DEP_2)
	v_add_nc_u32_e32 v11, v11, v37
	v_mul_hi_u32 v37, v8, v36
	s_delay_alu instid0(VALU_DEP_2)
	v_mul_lo_u32 v48, v8, v11
	v_mul_hi_u32 v49, v8, v11
	v_mul_hi_u32 v50, v9, v36
	v_mul_lo_u32 v36, v9, v36
	v_mul_hi_u32 v51, v9, v11
	v_mul_lo_u32 v11, v9, v11
	v_add_co_u32 v37, vcc_lo, v37, v48
	v_add_co_ci_u32_e32 v48, vcc_lo, 0, v49, vcc_lo
	s_delay_alu instid0(VALU_DEP_2) | instskip(NEXT) | instid1(VALU_DEP_2)
	v_add_co_u32 v36, vcc_lo, v37, v36
	v_add_co_ci_u32_e32 v36, vcc_lo, v48, v50, vcc_lo
	v_add_co_ci_u32_e32 v37, vcc_lo, 0, v51, vcc_lo
	v_ashrrev_i32_e32 v50, 31, v10
	s_delay_alu instid0(VALU_DEP_3) | instskip(NEXT) | instid1(VALU_DEP_3)
	v_add_co_u32 v11, vcc_lo, v36, v11
	v_add_co_ci_u32_e32 v36, vcc_lo, 0, v37, vcc_lo
	s_delay_alu instid0(VALU_DEP_2) | instskip(NEXT) | instid1(VALU_DEP_2)
	v_add_co_u32 v8, vcc_lo, v8, v11
	v_add_co_ci_u32_e32 v9, vcc_lo, v9, v36, vcc_lo
	s_delay_alu instid0(VALU_DEP_2) | instskip(SKIP_1) | instid1(VALU_DEP_3)
	v_mul_hi_u32 v11, s40, v8
	v_mul_lo_u32 v37, s41, v8
	v_mul_lo_u32 v36, s40, v9
	s_delay_alu instid0(VALU_DEP_1) | instskip(SKIP_2) | instid1(VALU_DEP_2)
	v_add_nc_u32_e32 v11, v11, v36
	v_mul_lo_u32 v36, s40, v8
	s_mov_b32 s40, s13
	v_add_nc_u32_e32 v11, v11, v37
	s_delay_alu instid0(VALU_DEP_2) | instskip(NEXT) | instid1(VALU_DEP_2)
	v_mul_hi_u32 v37, v8, v36
	v_mul_lo_u32 v48, v8, v11
	v_mul_hi_u32 v49, v8, v11
	v_mul_hi_u32 v51, v9, v36
	v_mul_lo_u32 v36, v9, v36
	v_mul_hi_u32 v52, v9, v11
	v_mul_lo_u32 v11, v9, v11
	v_add_co_u32 v37, vcc_lo, v37, v48
	v_add_co_ci_u32_e32 v48, vcc_lo, 0, v49, vcc_lo
	s_delay_alu instid0(VALU_DEP_2) | instskip(NEXT) | instid1(VALU_DEP_2)
	v_add_co_u32 v36, vcc_lo, v37, v36
	v_add_co_ci_u32_e32 v36, vcc_lo, v48, v51, vcc_lo
	v_add_co_ci_u32_e32 v37, vcc_lo, 0, v52, vcc_lo
	v_add_co_u32 v2, vcc_lo, v2, v50
	v_add_co_ci_u32_e32 v10, vcc_lo, v10, v50, vcc_lo
	s_delay_alu instid0(VALU_DEP_4) | instskip(NEXT) | instid1(VALU_DEP_4)
	v_add_co_u32 v11, vcc_lo, v36, v11
	v_add_co_ci_u32_e32 v36, vcc_lo, 0, v37, vcc_lo
	s_delay_alu instid0(VALU_DEP_4) | instskip(NEXT) | instid1(VALU_DEP_3)
	v_xor_b32_e32 v2, v2, v50
	v_add_co_u32 v37, vcc_lo, v8, v11
	s_delay_alu instid0(VALU_DEP_3) | instskip(SKIP_1) | instid1(VALU_DEP_3)
	v_add_co_ci_u32_e32 v48, vcc_lo, v9, v36, vcc_lo
	v_xor_b32_e32 v49, v10, v50
	v_mul_hi_u32 v51, v2, v37
	s_delay_alu instid0(VALU_DEP_3) | instskip(NEXT) | instid1(VALU_DEP_3)
	v_mad_u64_u32 v[8:9], null, v2, v48, 0
	v_mad_u64_u32 v[10:11], null, v49, v37, 0
	;; [unrolled: 1-line block ×3, first 2 shown]
	s_delay_alu instid0(VALU_DEP_3) | instskip(NEXT) | instid1(VALU_DEP_4)
	v_add_co_u32 v8, vcc_lo, v51, v8
	v_add_co_ci_u32_e32 v9, vcc_lo, 0, v9, vcc_lo
	s_delay_alu instid0(VALU_DEP_2) | instskip(NEXT) | instid1(VALU_DEP_2)
	v_add_co_u32 v8, vcc_lo, v8, v10
	v_add_co_ci_u32_e32 v8, vcc_lo, v9, v11, vcc_lo
	v_add_co_ci_u32_e32 v9, vcc_lo, 0, v37, vcc_lo
	s_delay_alu instid0(VALU_DEP_2) | instskip(NEXT) | instid1(VALU_DEP_2)
	v_add_co_u32 v10, vcc_lo, v8, v36
	v_add_co_ci_u32_e32 v11, vcc_lo, 0, v9, vcc_lo
	s_delay_alu instid0(VALU_DEP_2) | instskip(SKIP_1) | instid1(VALU_DEP_3)
	v_mul_lo_u32 v36, s17, v10
	v_mad_u64_u32 v[8:9], null, s16, v10, 0
	v_mul_lo_u32 v37, s16, v11
	s_delay_alu instid0(VALU_DEP_2) | instskip(NEXT) | instid1(VALU_DEP_2)
	v_sub_co_u32 v2, vcc_lo, v2, v8
	v_add3_u32 v9, v9, v37, v36
	s_delay_alu instid0(VALU_DEP_1) | instskip(NEXT) | instid1(VALU_DEP_1)
	v_sub_nc_u32_e32 v36, v49, v9
	v_subrev_co_ci_u32_e64 v8, s13, s17, v36, vcc_lo
	v_add_co_u32 v36, s13, v10, 2
	s_delay_alu instid0(VALU_DEP_1) | instskip(SKIP_3) | instid1(VALU_DEP_3)
	v_add_co_ci_u32_e64 v37, s13, 0, v11, s13
	v_sub_co_u32 v48, s13, v2, s16
	v_sub_co_ci_u32_e32 v9, vcc_lo, v49, v9, vcc_lo
	v_subrev_co_ci_u32_e64 v8, s13, 0, v8, s13
	v_cmp_le_u32_e32 vcc_lo, s16, v48
	s_delay_alu instid0(VALU_DEP_3) | instskip(SKIP_1) | instid1(VALU_DEP_4)
	v_cmp_eq_u32_e64 s13, s17, v9
	v_cndmask_b32_e64 v48, 0, -1, vcc_lo
	v_cmp_le_u32_e32 vcc_lo, s17, v8
	v_cndmask_b32_e64 v49, 0, -1, vcc_lo
	v_cmp_le_u32_e32 vcc_lo, s16, v2
	;; [unrolled: 2-line block ×3, first 2 shown]
	v_cndmask_b32_e64 v51, 0, -1, vcc_lo
	v_cmp_eq_u32_e32 vcc_lo, s17, v8
	s_delay_alu instid0(VALU_DEP_2) | instskip(SKIP_3) | instid1(VALU_DEP_3)
	v_cndmask_b32_e64 v2, v51, v2, s13
	v_cndmask_b32_e32 v8, v49, v48, vcc_lo
	v_add_co_u32 v48, vcc_lo, v10, 1
	v_add_co_ci_u32_e32 v49, vcc_lo, 0, v11, vcc_lo
	v_cmp_ne_u32_e32 vcc_lo, 0, v8
	s_mov_b32 s13, s40
	s_delay_alu instid0(VALU_DEP_2)
	v_dual_cndmask_b32 v8, v49, v37 :: v_dual_cndmask_b32 v9, v48, v36
	v_cmp_ne_u32_e32 vcc_lo, 0, v2
	v_xor_b32_e32 v2, s14, v50
	s_mov_b32 s14, s38
	s_mov_b32 s38, s19
	v_dual_cndmask_b32 v8, v11, v8 :: v_dual_cndmask_b32 v9, v10, v9
	v_xor_b32_e32 v10, s15, v50
	s_delay_alu instid0(VALU_DEP_2) | instskip(NEXT) | instid1(VALU_DEP_2)
	v_xor_b32_e32 v9, v9, v2
	v_xor_b32_e32 v11, v8, v10
	s_delay_alu instid0(VALU_DEP_2) | instskip(NEXT) | instid1(VALU_DEP_2)
	v_sub_co_u32 v8, vcc_lo, v9, v2
	v_sub_co_ci_u32_e32 v9, vcc_lo, v11, v10, vcc_lo
                                        ; implicit-def: $vgpr2
.LBB4_58:                               ;   in Loop: Header=BB4_55 Depth=1
	s_and_not1_saveexec_b32 s3, s13
	s_cbranch_execz .LBB4_60
; %bb.59:                               ;   in Loop: Header=BB4_55 Depth=1
	v_cvt_f32_u32_e32 v8, s25
	s_delay_alu instid0(VALU_DEP_1) | instskip(SKIP_2) | instid1(VALU_DEP_1)
	v_rcp_iflag_f32_e32 v8, v8
	s_waitcnt_depctr 0xfff
	v_mul_f32_e32 v8, 0x4f7ffffe, v8
	v_cvt_u32_f32_e32 v8, v8
	s_delay_alu instid0(VALU_DEP_1) | instskip(NEXT) | instid1(VALU_DEP_1)
	v_mul_lo_u32 v9, s37, v8
	v_mul_hi_u32 v9, v8, v9
	s_delay_alu instid0(VALU_DEP_1) | instskip(NEXT) | instid1(VALU_DEP_1)
	v_add_nc_u32_e32 v8, v8, v9
	v_mul_hi_u32 v8, v2, v8
	s_delay_alu instid0(VALU_DEP_1) | instskip(NEXT) | instid1(VALU_DEP_1)
	v_mul_lo_u32 v9, v8, s25
	v_sub_nc_u32_e32 v2, v2, v9
	s_delay_alu instid0(VALU_DEP_1) | instskip(SKIP_1) | instid1(VALU_DEP_2)
	v_subrev_nc_u32_e32 v10, s25, v2
	v_cmp_le_u32_e32 vcc_lo, s25, v2
	v_dual_cndmask_b32 v2, v2, v10 :: v_dual_add_nc_u32 v9, 1, v8
	s_delay_alu instid0(VALU_DEP_1) | instskip(NEXT) | instid1(VALU_DEP_2)
	v_cndmask_b32_e32 v8, v8, v9, vcc_lo
	v_cmp_le_u32_e32 vcc_lo, s25, v2
	s_delay_alu instid0(VALU_DEP_2) | instskip(NEXT) | instid1(VALU_DEP_1)
	v_add_nc_u32_e32 v9, 1, v8
	v_cndmask_b32_e32 v2, v8, v9, vcc_lo
	s_delay_alu instid0(VALU_DEP_1)
	v_dual_mov_b32 v9, v3 :: v_dual_mov_b32 v8, v2
.LBB4_60:                               ;   in Loop: Header=BB4_55 Depth=1
	s_or_b32 exec_lo, exec_lo, s3
	s_delay_alu instid0(VALU_DEP_1) | instskip(NEXT) | instid1(VALU_DEP_2)
	v_add_co_u32 v2, vcc_lo, v8, 1
	v_add_co_ci_u32_e32 v37, vcc_lo, 0, v9, vcc_lo
	s_delay_alu instid0(VALU_DEP_2)
	v_and_b32_e32 v36, -2, v2
.LBB4_61:                               ;   in Loop: Header=BB4_55 Depth=1
	v_writelane_b32 v42, s20, 1
	v_writelane_b32 v42, s21, 2
	s_or_b32 exec_lo, exec_lo, s12
	v_mul_lo_u32 v2, v37, s20
	v_mul_lo_u32 v8, v36, s30
	v_mad_u64_u32 v[50:51], null, v36, s20, 0
	v_mov_b32_e32 v10, 0
	s_mov_b32 s16, 0
	s_delay_alu instid0(VALU_DEP_2) | instskip(NEXT) | instid1(VALU_DEP_3)
	v_add3_u32 v51, v51, v8, v2
	v_sub_co_u32 v8, vcc_lo, v38, v50
	s_delay_alu instid0(VALU_DEP_2) | instskip(NEXT) | instid1(VALU_DEP_1)
	v_sub_co_ci_u32_e32 v9, vcc_lo, v39, v51, vcc_lo
	v_cmp_lt_i64_e32 vcc_lo, v[36:37], v[8:9]
	v_cndmask_b32_e32 v8, v8, v36, vcc_lo
	v_add_co_u32 v48, vcc_lo, v34, v14
	v_add_co_ci_u32_e32 v49, vcc_lo, v35, v15, vcc_lo
	s_delay_alu instid0(VALU_DEP_3) | instskip(NEXT) | instid1(VALU_DEP_1)
	v_max_i32_e32 v66, 0, v8
	v_add_nc_u32_e32 v2, 31, v66
	s_delay_alu instid0(VALU_DEP_1) | instskip(NEXT) | instid1(VALU_DEP_1)
	v_lshrrev_b32_e32 v2, 1, v2
	v_and_b32_e32 v9, 0x3ffffff0, v2
	v_cmp_lt_i32_e32 vcc_lo, 0, v8
	v_mov_b32_e32 v2, 0
	s_delay_alu instid0(VALU_DEP_3) | instskip(SKIP_1) | instid1(SALU_CYCLE_1)
	v_max_i32_e32 v8, s31, v9
	s_and_b32 s3, s22, vcc_lo
	s_and_saveexec_b32 s15, s3
	s_cbranch_execz .LBB4_227
; %bb.62:                               ;   in Loop: Header=BB4_55 Depth=1
	v_lshlrev_b64 v[50:51], 3, v[50:51]
	v_mov_b32_e32 v10, 0
	s_mov_b32 s21, s6
	s_mov_b32 s6, s5
	s_mov_b32 s12, 1
	s_mov_b32 s17, -1
.LBB4_63:                               ;   Parent Loop BB4_55 Depth=1
                                        ; =>  This Loop Header: Depth=2
                                        ;       Child Loop BB4_72 Depth 3
                                        ;       Child Loop BB4_101 Depth 3
	;; [unrolled: 1-line block ×9, first 2 shown]
	s_and_saveexec_b32 s3, s0
	s_cbranch_execz .LBB4_66
; %bb.64:                               ;   in Loop: Header=BB4_63 Depth=2
	s_cbranch_execnz .LBB4_1492
; %bb.65:                               ;   in Loop: Header=BB4_63 Depth=2
	ds_load_b64 v[52:53], v0
	v_lshlrev_b64 v[54:55], 3, v[48:49]
	v_ashrrev_i32_e32 v11, 31, v10
	s_waitcnt lgkmcnt(0)
	s_delay_alu instid0(VALU_DEP_2) | instskip(NEXT) | instid1(VALU_DEP_3)
	v_add_co_u32 v2, vcc_lo, v52, v54
	v_add_co_ci_u32_e32 v9, vcc_lo, v53, v55, vcc_lo
	s_delay_alu instid0(VALU_DEP_3) | instskip(NEXT) | instid1(VALU_DEP_3)
	v_lshlrev_b64 v[52:53], 3, v[10:11]
	v_add_co_u32 v2, vcc_lo, v2, v50
	s_delay_alu instid0(VALU_DEP_3) | instskip(NEXT) | instid1(VALU_DEP_2)
	v_add_co_ci_u32_e32 v9, vcc_lo, v9, v51, vcc_lo
	v_add_co_u32 v52, vcc_lo, v2, v52
	s_delay_alu instid0(VALU_DEP_2)
	v_add_co_ci_u32_e32 v53, vcc_lo, v9, v53, vcc_lo
	v_mov_b32_e32 v2, v3
	ds_store_b64 v0, v[52:53]
	ds_store_b64 v0, v[2:3]
.LBB4_66:                               ;   in Loop: Header=BB4_63 Depth=2
	s_or_b32 exec_lo, exec_lo, s3
	v_and_b32_e32 v2, 8, v30
	s_mov_b32 s5, -1
	s_mov_b32 s3, exec_lo
	s_delay_alu instid0(VALU_DEP_1)
	v_cmpx_ne_u32_e32 0, v2
	s_cbranch_execz .LBB4_80
; %bb.67:                               ;   in Loop: Header=BB4_63 Depth=2
	v_add_co_u32 v54, vcc_lo, v28, 8
	v_add_co_ci_u32_e32 v55, vcc_lo, 0, v29, vcc_lo
	v_add_co_u32 v52, vcc_lo, v22, 2
	v_add_co_ci_u32_e32 v53, vcc_lo, 0, v23, vcc_lo
	v_mov_b32_e32 v2, 1
	s_mov_b32 s5, exec_lo
	s_delay_alu instid0(VALU_DEP_2)
	v_cmpx_lt_u64_e64 v[54:55], v[52:53]
	s_cbranch_execz .LBB4_79
; %bb.68:                               ;   in Loop: Header=BB4_63 Depth=2
	v_mov_b32_e32 v2, 0
	s_mov_b32 s13, 0
                                        ; implicit-def: $sgpr19
	s_branch .LBB4_72
.LBB4_69:                               ;   in Loop: Header=BB4_72 Depth=3
	s_or_b32 exec_lo, exec_lo, s43
	v_mov_b32_e32 v9, 0
	s_or_not1_b32 s42, s42, exec_lo
.LBB4_70:                               ;   in Loop: Header=BB4_72 Depth=3
	s_or_b32 exec_lo, exec_lo, s41
	s_delay_alu instid0(VALU_DEP_1) | instskip(SKIP_2) | instid1(SALU_CYCLE_1)
	v_mov_b32_e32 v2, v9
	s_and_not1_b32 s19, s19, exec_lo
	s_and_b32 vcc_lo, s42, exec_lo
	s_or_b32 s19, s19, vcc_lo
.LBB4_71:                               ;   in Loop: Header=BB4_72 Depth=3
	s_or_b32 exec_lo, exec_lo, s40
	s_waitcnt vmcnt(0) lgkmcnt(0)
	v_add_co_u32 v54, vcc_lo, v28, 8
	v_add_co_ci_u32_e32 v55, vcc_lo, 0, v29, vcc_lo
	s_xor_b32 s40, s19, -1
	s_delay_alu instid0(VALU_DEP_1) | instskip(SKIP_1) | instid1(SALU_CYCLE_1)
	v_cmp_ge_u64_e32 vcc_lo, v[54:55], v[52:53]
	s_or_b32 vcc_lo, s40, vcc_lo
	s_and_b32 vcc_lo, exec_lo, vcc_lo
	s_delay_alu instid0(SALU_CYCLE_1) | instskip(NEXT) | instid1(SALU_CYCLE_1)
	s_or_b32 s13, vcc_lo, s13
	s_and_not1_b32 exec_lo, exec_lo, s13
	s_cbranch_execz .LBB4_78
.LBB4_72:                               ;   Parent Loop BB4_55 Depth=1
                                        ;     Parent Loop BB4_63 Depth=2
                                        ; =>    This Inner Loop Header: Depth=3
	s_sleep 1
	flat_load_b64 v[28:29], v[20:21] glc
	v_and_b32_e32 v9, 64, v30
	s_and_not1_b32 s19, s19, exec_lo
	s_mov_b32 s40, exec_lo
	s_delay_alu instid0(VALU_DEP_1)
	v_cmpx_eq_u32_e32 0, v9
	s_cbranch_execz .LBB4_71
; %bb.73:                               ;   in Loop: Header=BB4_72 Depth=3
	v_add_nc_u32_e32 v9, 1, v2
	s_mov_b32 s42, -1
	s_mov_b32 s41, exec_lo
	v_cmpx_lt_i32_e32 0x270e, v2
	s_cbranch_execz .LBB4_70
; %bb.74:                               ;   in Loop: Header=BB4_72 Depth=3
	s_cbranch_execnz .LBB4_1514
; %bb.75:                               ;   in Loop: Header=BB4_72 Depth=3
	ds_load_b64 v[54:55], v0
	s_mov_b32 s43, exec_lo
	s_waitcnt vmcnt(0) lgkmcnt(0)
	s_waitcnt_vscnt null, 0x0
	flat_load_b32 v2, v[54:55] glc
	s_waitcnt vmcnt(0) lgkmcnt(0)
	buffer_gl1_inv
	buffer_gl0_inv
	v_cmpx_ne_u32_e32 0, v2
	s_cbranch_execz .LBB4_69
; %bb.76:                               ;   in Loop: Header=BB4_72 Depth=3
	ds_store_b32 v0, v2
	s_cbranch_execnz .LBB4_1533
; %bb.77:                               ;   in Loop: Header=BB4_72 Depth=3
	v_or_b32_e32 v30, 64, v30
	s_xor_b32 s42, exec_lo, -1
	s_branch .LBB4_69
.LBB4_78:                               ;   in Loop: Header=BB4_63 Depth=2
	s_or_b32 exec_lo, exec_lo, s13
	v_and_b32_e32 v2, 8, v30
.LBB4_79:                               ;   in Loop: Header=BB4_63 Depth=2
	s_or_b32 exec_lo, exec_lo, s5
	s_delay_alu instid0(VALU_DEP_1)
	v_cmp_eq_u32_e32 vcc_lo, 0, v2
	;;#ASMSTART
	s_wakeup
	;;#ASMEND
	s_or_not1_b32 s5, vcc_lo, exec_lo
.LBB4_80:                               ;   in Loop: Header=BB4_63 Depth=2
	s_or_b32 exec_lo, exec_lo, s3
	v_sub_nc_u32_e32 v2, v66, v10
	s_xor_b32 s5, s5, -1
	s_delay_alu instid0(VALU_DEP_1)
	v_min_i32_e32 v8, v8, v2
	s_and_saveexec_b32 s3, s5
	s_cbranch_execz .LBB4_90
; %bb.81:                               ;   in Loop: Header=BB4_63 Depth=2
	v_and_b32_e32 v2, 0x100, v30
	v_and_b32_e32 v52, 7, v22
	s_mov_b32 s13, 0
	s_mov_b32 s5, exec_lo
                                        ; implicit-def: $vgpr54_vgpr55
	s_delay_alu instid0(VALU_DEP_2)
	v_cmpx_ne_u32_e32 0, v2
	s_xor_b32 s5, exec_lo, s5
	s_cbranch_execz .LBB4_98
; %bb.82:                               ;   in Loop: Header=BB4_63 Depth=2
	v_mad_u64_u32 v[64:65], null, v52, 24, v[6:7]
	v_ashrrev_i32_e32 v9, 31, v8
	s_mov_b32 s13, -1
	s_mov_b32 s19, exec_lo
	s_delay_alu instid0(VALU_DEP_1)
	v_lshlrev_b64 v[53:54], 3, v[8:9]
	flat_load_b32 v2, v[64:65]
	flat_store_b64 v[64:65], v[53:54] offset:8
                                        ; implicit-def: $vgpr54_vgpr55
	s_waitcnt vmcnt(0) lgkmcnt(1)
	v_cmpx_eq_u32_e32 1, v2
	s_cbranch_execz .LBB4_84
; %bb.83:                               ;   in Loop: Header=BB4_63 Depth=2
	flat_load_b32 v52, v[64:65] offset:4 glc
	s_xor_b32 s13, exec_lo, -1
	s_waitcnt vmcnt(0) lgkmcnt(0)
	v_ashrrev_i32_e32 v53, 31, v52
	s_delay_alu instid0(VALU_DEP_1)
	v_lshrrev_b64 v[54:55], 3, v[52:53]
                                        ; implicit-def: $vgpr52_vgpr53
.LBB4_84:                               ;   in Loop: Header=BB4_63 Depth=2
	s_or_b32 exec_lo, exec_lo, s19
	s_delay_alu instid0(SALU_CYCLE_1)
	s_and_b32 s13, s13, exec_lo
	s_and_not1_saveexec_b32 s5, s5
	s_cbranch_execnz .LBB4_99
.LBB4_85:                               ;   in Loop: Header=BB4_63 Depth=2
	s_or_b32 exec_lo, exec_lo, s5
	s_and_saveexec_b32 s5, s13
.LBB4_86:                               ;   in Loop: Header=BB4_63 Depth=2
	v_mul_lo_u32 v2, v3, v84
	v_mul_lo_u32 v9, v52, v85
	v_mad_u64_u32 v[54:55], null, v52, v84, 0
	s_delay_alu instid0(VALU_DEP_1)
	v_add3_u32 v55, v55, v9, v2
.LBB4_87:                               ;   in Loop: Header=BB4_63 Depth=2
	s_or_b32 exec_lo, exec_lo, s5
	s_delay_alu instid0(VALU_DEP_1) | instskip(SKIP_2) | instid1(VALU_DEP_2)
	v_lshlrev_b64 v[52:53], 3, v[54:55]
	v_and_b32_e32 v2, 0x2000, v30
	s_mov_b32 s5, exec_lo
	v_add_co_u32 v52, vcc_lo, v24, v52
	s_delay_alu instid0(VALU_DEP_3)
	v_add_co_ci_u32_e32 v53, vcc_lo, v25, v53, vcc_lo
	ds_store_b64 v0, v[52:53] offset:784
	v_cmpx_ne_u32_e32 0, v2
	s_cbranch_execz .LBB4_89
; %bb.88:                               ;   in Loop: Header=BB4_63 Depth=2
	ds_load_b64 v[52:53], v0 offset:584
	s_waitcnt lgkmcnt(0)
	v_add_co_u32 v52, vcc_lo, v52, 1
	v_add_co_ci_u32_e32 v53, vcc_lo, 0, v53, vcc_lo
	ds_store_b64 v0, v[52:53] offset:584
.LBB4_89:                               ;   in Loop: Header=BB4_63 Depth=2
	s_or_b32 exec_lo, exec_lo, s5
	v_add_co_u32 v22, vcc_lo, v22, 2
	v_add_co_ci_u32_e32 v23, vcc_lo, 0, v23, vcc_lo
.LBB4_90:                               ;   in Loop: Header=BB4_63 Depth=2
	s_or_b32 exec_lo, exec_lo, s3
	s_and_saveexec_b32 s5, s38
	s_cbranch_execz .LBB4_114
; %bb.91:                               ;   in Loop: Header=BB4_63 Depth=2
	s_and_saveexec_b32 s3, s4
	s_delay_alu instid0(SALU_CYCLE_1)
	s_xor_b32 s3, exec_lo, s3
	s_cbranch_execz .LBB4_111
; %bb.92:                               ;   in Loop: Header=BB4_63 Depth=2
	s_and_saveexec_b32 s13, s1
	s_cbranch_execz .LBB4_110
; %bb.93:                               ;   in Loop: Header=BB4_63 Depth=2
	s_mov_b32 s19, exec_lo
	s_mov_b32 s40, exec_lo
	v_mbcnt_lo_u32_b32 v2, s19, 0
	s_waitcnt lgkmcnt(0)
	s_waitcnt_vscnt null, 0x0
	buffer_gl1_inv
	buffer_gl0_inv
	v_cmpx_eq_u32_e32 0, v2
	s_cbranch_execz .LBB4_95
; %bb.94:                               ;   in Loop: Header=BB4_63 Depth=2
	s_bcnt1_i32_b32 s19, s19
	s_delay_alu instid0(SALU_CYCLE_1)
	v_mov_b32_e32 v2, s19
	ds_add_u64 v0, v[2:3]
	s_cbranch_execnz .LBB4_1559
.LBB4_95:                               ;   in Loop: Header=BB4_63 Depth=2
	s_or_b32 exec_lo, exec_lo, s40
	s_cbranch_execnz .LBB4_1539
; %bb.96:                               ;   in Loop: Header=BB4_63 Depth=2
	ds_load_b64 v[52:53], v0
	v_add_co_u32 v12, vcc_lo, v12, v86
	v_add_co_ci_u32_e32 v13, vcc_lo, 0, v13, vcc_lo
	s_mov_b32 s19, s37
	s_mov_b32 s37, exec_lo
	s_waitcnt lgkmcnt(0)
	s_delay_alu instid0(VALU_DEP_1)
	v_cmpx_lt_u64_e64 v[52:53], v[12:13]
	s_cbranch_execz .LBB4_109
; %bb.97:                               ;   in Loop: Header=BB4_63 Depth=2
	s_mov_b32 s40, 0
	s_mov_b32 s43, 0
                                        ; implicit-def: $sgpr41
                                        ; implicit-def: $sgpr42
	s_branch .LBB4_101
.LBB4_98:                               ;   in Loop: Header=BB4_63 Depth=2
	s_and_not1_saveexec_b32 s5, s5
	s_cbranch_execz .LBB4_85
.LBB4_99:                               ;   in Loop: Header=BB4_63 Depth=2
	s_or_b32 s13, s13, exec_lo
                                        ; implicit-def: $vgpr54_vgpr55
	s_or_b32 exec_lo, exec_lo, s5
	s_and_saveexec_b32 s5, s13
	s_cbranch_execnz .LBB4_86
	s_branch .LBB4_87
.LBB4_100:                              ;   in Loop: Header=BB4_101 Depth=3
	s_or_b32 exec_lo, exec_lo, s45
	s_delay_alu instid0(SALU_CYCLE_1) | instskip(NEXT) | instid1(SALU_CYCLE_1)
	s_and_b32 vcc_lo, exec_lo, vcc_lo
	s_or_b32 s40, vcc_lo, s40
	s_and_not1_b32 vcc_lo, s41, exec_lo
	s_and_b32 s41, s42, exec_lo
	s_delay_alu instid0(SALU_CYCLE_1)
	s_or_b32 s41, vcc_lo, s41
	s_and_not1_b32 exec_lo, exec_lo, s40
	s_cbranch_execz .LBB4_107
.LBB4_101:                              ;   Parent Loop BB4_55 Depth=1
                                        ;     Parent Loop BB4_63 Depth=2
                                        ; =>    This Inner Loop Header: Depth=3
	s_add_i32 s43, s43, 1
                                        ; implicit-def: $sgpr45
	s_delay_alu instid0(SALU_CYCLE_1) | instskip(SKIP_1) | instid1(SALU_CYCLE_1)
	s_cmpk_lg_i32 s43, 0x2710
	s_cselect_b32 s44, -1, 0
	s_and_b32 vcc_lo, exec_lo, s44
	s_cbranch_vccz .LBB4_105
.LBB4_102:                              ;   in Loop: Header=BB4_101 Depth=3
	s_and_not1_b32 s42, s42, exec_lo
	s_and_b32 s45, s45, exec_lo
	s_mov_b32 vcc_lo, -1
	s_or_b32 s42, s42, s45
	s_and_saveexec_b32 s45, s44
	s_cbranch_execz .LBB4_100
; %bb.103:                              ;   in Loop: Header=BB4_101 Depth=3
	s_sleep 1
	s_cbranch_execnz .LBB4_1587
; %bb.104:                              ;   in Loop: Header=BB4_101 Depth=3
	ds_load_b64 v[52:53], v0
	s_and_not1_b32 s42, s42, exec_lo
	s_waitcnt lgkmcnt(0)
	v_cmp_ge_u64_e32 vcc_lo, v[52:53], v[12:13]
	s_or_not1_b32 vcc_lo, vcc_lo, exec_lo
	s_branch .LBB4_100
.LBB4_105:                              ;   in Loop: Header=BB4_101 Depth=3
	s_cbranch_execnz .LBB4_1593
; %bb.106:                              ;   in Loop: Header=BB4_101 Depth=3
	ds_load_b64 v[52:53], v0
	s_and_not1_b32 s44, s44, exec_lo
	s_mov_b32 s43, 0
	s_mov_b32 s45, -1
	s_waitcnt lgkmcnt(0)
	flat_load_b32 v2, v[52:53] glc
	s_waitcnt vmcnt(0) lgkmcnt(0)
	buffer_gl1_inv
	buffer_gl0_inv
	v_cmp_eq_u32_e32 vcc_lo, 0, v2
	s_and_b32 vcc_lo, vcc_lo, exec_lo
	s_delay_alu instid0(SALU_CYCLE_1)
	s_or_b32 s44, s44, vcc_lo
	s_branch .LBB4_102
.LBB4_107:                              ;   in Loop: Header=BB4_63 Depth=2
	s_or_b32 exec_lo, exec_lo, s40
	s_and_saveexec_b32 vcc_lo, s41
	s_delay_alu instid0(SALU_CYCLE_1)
	s_xor_b32 vcc_lo, exec_lo, vcc_lo
	s_cbranch_execz .LBB4_109
; %bb.108:                              ;   in Loop: Header=BB4_63 Depth=2
	ds_store_b32 v0, v131
	s_cbranch_execnz .LBB4_1807
.LBB4_109:                              ;   in Loop: Header=BB4_63 Depth=2
	s_or_b32 exec_lo, exec_lo, s37
	s_mov_b32 s37, s19
	;;#ASMSTART
	s_wakeup
	;;#ASMEND
.LBB4_110:                              ;   in Loop: Header=BB4_63 Depth=2
	s_or_b32 exec_lo, exec_lo, s13
.LBB4_111:                              ;   in Loop: Header=BB4_63 Depth=2
	s_and_not1_saveexec_b32 s3, s3
	s_cbranch_execz .LBB4_113
; %bb.112:                              ;   in Loop: Header=BB4_63 Depth=2
	s_waitcnt lgkmcnt(0)
	s_waitcnt_vscnt null, 0x0
	buffer_gl1_inv
	buffer_gl0_inv
	s_barrier
.LBB4_113:                              ;   in Loop: Header=BB4_63 Depth=2
	s_or_b32 exec_lo, exec_lo, s3
.LBB4_114:                              ;   in Loop: Header=BB4_63 Depth=2
	s_delay_alu instid0(SALU_CYCLE_1)
	s_or_b32 exec_lo, exec_lo, s5
	s_cbranch_execnz .LBB4_1490
; %bb.115:                              ;   in Loop: Header=BB4_63 Depth=2
	ds_load_b32 v11, v0
	v_and_b32_e32 v2, 0x4000, v30
	s_xor_b32 s3, s2, -1
	s_delay_alu instid0(VALU_DEP_1) | instskip(SKIP_1) | instid1(SALU_CYCLE_1)
	v_cmp_ne_u32_e32 vcc_lo, 0, v2
	s_and_b32 s3, s3, vcc_lo
	s_and_saveexec_b32 s5, s3
	s_cbranch_execz .LBB4_137
; %bb.116:                              ;   in Loop: Header=BB4_63 Depth=2
	s_and_saveexec_b32 s3, s4
	s_delay_alu instid0(SALU_CYCLE_1)
	s_xor_b32 s3, exec_lo, s3
	s_cbranch_execz .LBB4_134
; %bb.117:                              ;   in Loop: Header=BB4_63 Depth=2
	s_and_saveexec_b32 s13, s1
	s_cbranch_execz .LBB4_133
; %bb.118:                              ;   in Loop: Header=BB4_63 Depth=2
	s_mov_b32 s40, exec_lo
	s_mov_b32 s19, s37
	v_mbcnt_lo_u32_b32 v2, s40, 0
	s_mov_b32 s37, exec_lo
	s_waitcnt lgkmcnt(0)
	s_waitcnt_vscnt null, 0x0
	buffer_gl1_inv
	buffer_gl0_inv
	v_cmpx_eq_u32_e32 0, v2
	s_cbranch_execz .LBB4_120
; %bb.119:                              ;   in Loop: Header=BB4_63 Depth=2
	s_bcnt1_i32_b32 vcc_lo, s40
	s_delay_alu instid0(SALU_CYCLE_1)
	v_mov_b32_e32 v2, vcc_lo
	ds_add_u64 v0, v[2:3]
	s_cbranch_execnz .LBB4_1585
.LBB4_120:                              ;   in Loop: Header=BB4_63 Depth=2
	s_or_b32 exec_lo, exec_lo, s37
	s_cbranch_execnz .LBB4_1573
; %bb.121:                              ;   in Loop: Header=BB4_63 Depth=2
	ds_load_b64 v[52:53], v0
	v_add_co_u32 v12, vcc_lo, v12, v86
	v_add_co_ci_u32_e32 v13, vcc_lo, 0, v13, vcc_lo
	s_mov_b32 s37, exec_lo
	s_waitcnt lgkmcnt(0)
	s_delay_alu instid0(VALU_DEP_1)
	v_cmpx_lt_u64_e64 v[52:53], v[12:13]
	s_cbranch_execz .LBB4_132
; %bb.122:                              ;   in Loop: Header=BB4_63 Depth=2
	s_mov_b32 s40, 0
	s_mov_b32 s43, 0
                                        ; implicit-def: $sgpr41
                                        ; implicit-def: $sgpr42
	s_branch .LBB4_124
.LBB4_123:                              ;   in Loop: Header=BB4_124 Depth=3
	s_or_b32 exec_lo, exec_lo, s45
	s_delay_alu instid0(SALU_CYCLE_1) | instskip(NEXT) | instid1(SALU_CYCLE_1)
	s_and_b32 vcc_lo, exec_lo, vcc_lo
	s_or_b32 s40, vcc_lo, s40
	s_and_not1_b32 vcc_lo, s41, exec_lo
	s_and_b32 s41, s42, exec_lo
	s_delay_alu instid0(SALU_CYCLE_1)
	s_or_b32 s41, vcc_lo, s41
	s_and_not1_b32 exec_lo, exec_lo, s40
	s_cbranch_execz .LBB4_130
.LBB4_124:                              ;   Parent Loop BB4_55 Depth=1
                                        ;     Parent Loop BB4_63 Depth=2
                                        ; =>    This Inner Loop Header: Depth=3
	s_add_i32 s43, s43, 1
                                        ; implicit-def: $sgpr45
	s_delay_alu instid0(SALU_CYCLE_1) | instskip(SKIP_1) | instid1(SALU_CYCLE_1)
	s_cmpk_lg_i32 s43, 0x2710
	s_cselect_b32 s44, -1, 0
	s_and_b32 vcc_lo, exec_lo, s44
	s_cbranch_vccz .LBB4_128
.LBB4_125:                              ;   in Loop: Header=BB4_124 Depth=3
	s_and_not1_b32 s42, s42, exec_lo
	s_and_b32 s45, s45, exec_lo
	s_mov_b32 vcc_lo, -1
	s_or_b32 s42, s42, s45
	s_and_saveexec_b32 s45, s44
	s_cbranch_execz .LBB4_123
; %bb.126:                              ;   in Loop: Header=BB4_124 Depth=3
	s_sleep 1
	s_cbranch_execnz .LBB4_1625
; %bb.127:                              ;   in Loop: Header=BB4_124 Depth=3
	ds_load_b64 v[52:53], v0
	s_and_not1_b32 s42, s42, exec_lo
	s_waitcnt lgkmcnt(0)
	v_cmp_ge_u64_e32 vcc_lo, v[52:53], v[12:13]
	s_or_not1_b32 vcc_lo, vcc_lo, exec_lo
	s_branch .LBB4_123
.LBB4_128:                              ;   in Loop: Header=BB4_124 Depth=3
	s_cbranch_execnz .LBB4_1643
; %bb.129:                              ;   in Loop: Header=BB4_124 Depth=3
	ds_load_b64 v[52:53], v0
	s_and_not1_b32 s44, s44, exec_lo
	s_mov_b32 s43, 0
	s_mov_b32 s45, -1
	s_waitcnt lgkmcnt(0)
	flat_load_b32 v2, v[52:53] glc
	s_waitcnt vmcnt(0) lgkmcnt(0)
	buffer_gl1_inv
	buffer_gl0_inv
	v_cmp_eq_u32_e32 vcc_lo, 0, v2
	s_and_b32 vcc_lo, vcc_lo, exec_lo
	s_delay_alu instid0(SALU_CYCLE_1)
	s_or_b32 s44, s44, vcc_lo
	s_branch .LBB4_125
.LBB4_130:                              ;   in Loop: Header=BB4_63 Depth=2
	s_or_b32 exec_lo, exec_lo, s40
	s_and_saveexec_b32 vcc_lo, s41
	s_delay_alu instid0(SALU_CYCLE_1)
	s_xor_b32 vcc_lo, exec_lo, vcc_lo
	s_cbranch_execz .LBB4_132
; %bb.131:                              ;   in Loop: Header=BB4_63 Depth=2
	ds_store_b32 v0, v131
	s_cbranch_execnz .LBB4_1857
.LBB4_132:                              ;   in Loop: Header=BB4_63 Depth=2
	s_or_b32 exec_lo, exec_lo, s37
	s_mov_b32 s37, s19
	;;#ASMSTART
	s_wakeup
	;;#ASMEND
.LBB4_133:                              ;   in Loop: Header=BB4_63 Depth=2
	s_or_b32 exec_lo, exec_lo, s13
.LBB4_134:                              ;   in Loop: Header=BB4_63 Depth=2
	s_and_not1_saveexec_b32 s3, s3
	s_cbranch_execz .LBB4_136
; %bb.135:                              ;   in Loop: Header=BB4_63 Depth=2
	s_waitcnt lgkmcnt(0)
	s_waitcnt_vscnt null, 0x0
	buffer_gl1_inv
	buffer_gl0_inv
	s_barrier
.LBB4_136:                              ;   in Loop: Header=BB4_63 Depth=2
	s_or_b32 exec_lo, exec_lo, s3
.LBB4_137:                              ;   in Loop: Header=BB4_63 Depth=2
	s_delay_alu instid0(SALU_CYCLE_1)
	s_or_b32 exec_lo, exec_lo, s5
	s_cbranch_execnz .LBB4_1516
; %bb.138:                              ;   in Loop: Header=BB4_63 Depth=2
	ds_load_b64 v[52:53], v0
	v_mov_b32_e32 v9, 0
	s_waitcnt lgkmcnt(0)
	v_cmp_eq_u64_e32 vcc_lo, 0, v[52:53]
	s_or_b32 s3, vcc_lo, vcc_lo
	s_delay_alu instid0(SALU_CYCLE_1)
	s_and_b32 vcc_lo, exec_lo, s3
	s_cbranch_vccnz .LBB4_173
; %bb.139:                              ;   in Loop: Header=BB4_63 Depth=2
	s_mov_b32 s5, s12
	s_mov_b32 s12, s14
	s_mov_b32 s3, -1
	s_and_saveexec_b32 s13, s6
	s_cbranch_execz .LBB4_141
; %bb.140:                              ;   in Loop: Header=BB4_63 Depth=2
	ds_load_b32 v2, v0 offset:720
	s_waitcnt lgkmcnt(0)
	v_and_b32_e32 v2, 15, v2
	s_delay_alu instid0(VALU_DEP_1)
	v_cmp_eq_u32_e32 vcc_lo, 0, v2
	s_or_not1_b32 s3, vcc_lo, exec_lo
.LBB4_141:                              ;   in Loop: Header=BB4_63 Depth=2
	s_or_b32 exec_lo, exec_lo, s13
	s_and_saveexec_b32 s13, s21
	s_cbranch_execz .LBB4_143
; %bb.142:                              ;   in Loop: Header=BB4_63 Depth=2
	ds_load_b32 v2, v0 offset:784
	s_waitcnt lgkmcnt(0)
	v_and_b32_e32 v2, 15, v2
	s_delay_alu instid0(VALU_DEP_1) | instskip(SKIP_3) | instid1(SALU_CYCLE_1)
	v_cmp_eq_u32_e32 vcc_lo, 0, v2
	s_and_b32 s14, s3, vcc_lo
	s_and_not1_b32 s3, s3, exec_lo
	s_and_b32 s14, s14, exec_lo
	s_or_b32 s3, s3, s14
.LBB4_143:                              ;   in Loop: Header=BB4_63 Depth=2
	s_or_b32 exec_lo, exec_lo, s13
	v_cmp_eq_u32_e32 vcc_lo, 0, v11
	s_xor_b32 s3, s3, -1
	s_mov_b32 s13, -1
	v_cndmask_b32_e64 v2, 0, 1, s3
	;;#ASMSTART
	;;#ASMEND
	v_cndmask_b32_e32 v9, 0, v8, vcc_lo
	s_delay_alu instid0(VALU_DEP_2) | instskip(NEXT) | instid1(VALU_DEP_2)
	v_cmp_ne_u32_e32 vcc_lo, 0, v2
	v_dual_mov_b32 v11, 0 :: v_dual_lshlrev_b32 v2, 3, v9
	s_cbranch_vccz .LBB4_145
; %bb.144:                              ;   in Loop: Header=BB4_63 Depth=2
	v_mov_b32_e32 v54, v0
	v_mov_b32_e32 v68, v87
	s_branch .LBB4_160
.LBB4_145:                              ;   in Loop: Header=BB4_63 Depth=2
	s_delay_alu instid0(VALU_DEP_1) | instskip(SKIP_1) | instid1(VALU_DEP_1)
	v_ashrrev_i32_e32 v11, 31, v2
	s_mov_b32 s3, exec_lo
	v_lshrrev_b32_e32 v11, 21, v11
	s_delay_alu instid0(VALU_DEP_1) | instskip(NEXT) | instid1(VALU_DEP_1)
	v_add_nc_u32_e32 v11, v2, v11
	v_ashrrev_i32_e32 v11, 11, v11
	s_delay_alu instid0(VALU_DEP_1) | instskip(NEXT) | instid1(VALU_DEP_1)
	v_sub_nc_u32_e32 v64, v11, v87
	v_cmpx_lt_i32_e32 0, v64
	s_cbranch_execz .LBB4_150
; %bb.146:                              ;   in Loop: Header=BB4_63 Depth=2
	s_cbranch_execnz .LBB4_1597
; %bb.147:                              ;   in Loop: Header=BB4_63 Depth=2
	ds_load_b64 v[52:53], v0
	s_mov_b32 s14, 0
	s_waitcnt lgkmcnt(0)
	v_dual_mov_b32 v55, v53 :: v_dual_mov_b32 v54, v52
	s_set_inst_prefetch_distance 0x1
.LBB4_148:                              ;   Parent Loop BB4_55 Depth=1
                                        ;     Parent Loop BB4_63 Depth=2
                                        ; =>    This Inner Loop Header: Depth=3
	s_delay_alu instid0(VALU_DEP_1) | instskip(NEXT) | instid1(VALU_DEP_2)
	v_add_co_u32 v144, vcc_lo, v97, v54
	v_add_co_ci_u32_e32 v145, vcc_lo, v99, v55, vcc_lo
	v_add_co_u32 v148, vcc_lo, v97, v52
	v_sub_nc_u32_e32 v64, v64, v86
	s_clause 0x3
	global_load_b128 v[67:70], v[144:145], off slc dlc
	global_load_b128 v[80:83], v[144:145], off offset:512 slc dlc
	global_load_b128 v[132:135], v[144:145], off offset:1024 slc dlc
	;; [unrolled: 1-line block ×3, first 2 shown]
	v_add_co_ci_u32_e32 v149, vcc_lo, v99, v53, vcc_lo
	v_add_co_u32 v54, vcc_lo, v54, v102
	v_add_co_ci_u32_e32 v55, vcc_lo, v55, v103, vcc_lo
	v_add_co_u32 v52, vcc_lo, v52, v102
	v_cmp_gt_i32_e64 s13, 1, v64
	v_add_co_ci_u32_e32 v53, vcc_lo, v53, v103, vcc_lo
	s_waitcnt vmcnt(3)
	global_store_b128 v[148:149], v[67:70], off glc slc dlc
	s_waitcnt vmcnt(2)
	global_store_b128 v[148:149], v[80:83], off offset:512 glc slc dlc
	s_waitcnt vmcnt(1)
	global_store_b128 v[148:149], v[132:135], off offset:1024 glc slc dlc
	;; [unrolled: 2-line block ×3, first 2 shown]
	s_or_b32 s14, s13, s14
	s_delay_alu instid0(SALU_CYCLE_1)
	s_and_not1_b32 exec_lo, exec_lo, s14
	s_cbranch_execnz .LBB4_148
; %bb.149:                              ;   in Loop: Header=BB4_63 Depth=2
	s_set_inst_prefetch_distance 0x2
	s_or_b32 exec_lo, exec_lo, s14
.LBB4_150:                              ;   in Loop: Header=BB4_63 Depth=2
	s_delay_alu instid0(SALU_CYCLE_1) | instskip(SKIP_4) | instid1(VALU_DEP_2)
	s_or_b32 exec_lo, exec_lo, s3
	v_lshlrev_b32_e32 v55, 11, v11
	v_mov_b32_e32 v11, 0
	s_mov_b32 s13, 0
	s_mov_b32 s3, exec_lo
                                        ; implicit-def: $vgpr54
                                        ; implicit-def: $vgpr68
	v_cmpx_ne_u32_e64 v2, v55
	s_cbranch_execz .LBB4_159
; %bb.151:                              ;   in Loop: Header=BB4_63 Depth=2
	v_lshlrev_b32_e32 v11, 5, v64
	v_sub_nc_u32_e32 v53, v2, v55
	s_mov_b32 s19, exec_lo
	s_delay_alu instid0(VALU_DEP_2) | instskip(NEXT) | instid1(VALU_DEP_2)
	v_sub_nc_u32_e32 v11, v96, v11
	v_ashrrev_i32_e32 v54, 31, v53
	s_delay_alu instid0(VALU_DEP_2) | instskip(NEXT) | instid1(VALU_DEP_2)
	v_ashrrev_i32_e32 v52, 31, v11
	v_lshrrev_b32_e32 v54, 23, v54
	s_delay_alu instid0(VALU_DEP_2) | instskip(NEXT) | instid1(VALU_DEP_2)
	v_lshrrev_b32_e32 v52, 27, v52
	v_add_nc_u32_e32 v54, v53, v54
	s_delay_alu instid0(VALU_DEP_2) | instskip(NEXT) | instid1(VALU_DEP_2)
	v_add_nc_u32_e32 v52, v11, v52
	v_ashrrev_i32_e32 v68, 9, v54
	s_delay_alu instid0(VALU_DEP_2) | instskip(SKIP_1) | instid1(VALU_DEP_2)
	v_and_b32_e32 v64, 0xffffffe0, v52
	v_ashrrev_i32_e32 v52, 5, v52
	v_sub_nc_u32_e32 v65, v11, v64
	v_and_b32_e32 v64, 0xfffffe00, v54
	s_delay_alu instid0(VALU_DEP_2) | instskip(NEXT) | instid1(VALU_DEP_2)
	v_lshlrev_b32_e32 v11, 4, v65
	v_sub_nc_u32_e32 v67, v53, v64
	s_delay_alu instid0(VALU_DEP_2) | instskip(NEXT) | instid1(VALU_DEP_2)
	v_lshl_add_u32 v54, v52, 9, v11
	v_cmp_lt_i32_e32 vcc_lo, 15, v67
	s_delay_alu instid0(VALU_DEP_2) | instskip(SKIP_1) | instid1(VALU_DEP_1)
	v_sub_nc_u32_e32 v11, v53, v54
	v_add_co_ci_u32_e64 v68, s13, 0, v68, vcc_lo
	v_sub_nc_u32_e32 v69, v68, v52
	s_delay_alu instid0(VALU_DEP_3)
	v_cmpx_lt_i32_e32 15, v11
	s_cbranch_execz .LBB4_156
; %bb.152:                              ;   in Loop: Header=BB4_63 Depth=2
	s_cbranch_execnz .LBB4_1661
; %bb.153:                              ;   in Loop: Header=BB4_63 Depth=2
	ds_load_b64 v[52:53], v0
	v_add_nc_u32_e32 v54, v54, v55
	s_mov_b32 s40, 0
	s_delay_alu instid0(VALU_DEP_1)
	v_ashrrev_i32_e32 v68, 31, v54
.LBB4_154:                              ;   Parent Loop BB4_55 Depth=1
                                        ;     Parent Loop BB4_63 Depth=2
                                        ; =>    This Inner Loop Header: Depth=3
	s_waitcnt lgkmcnt(0)
	v_add_co_u32 v132, s13, v52, v54
	s_delay_alu instid0(VALU_DEP_1)
	v_add_co_ci_u32_e64 v133, s13, v53, v68, s13
	v_sub_nc_u32_e32 v11, v11, v98
	v_add_co_u32 v54, s14, v54, v114
	global_load_b128 v[80:83], v[132:133], off slc dlc
	v_sub_nc_u32_e32 v69, v69, v86
	v_cmp_gt_i32_e64 s13, 16, v11
	v_add_co_ci_u32_e64 v68, s14, v68, v115, s14
	s_delay_alu instid0(VALU_DEP_2)
	s_or_b32 s40, s13, s40
	s_waitcnt vmcnt(0)
	global_store_b128 v[132:133], v[80:83], off glc slc dlc
	s_and_not1_b32 exec_lo, exec_lo, s40
	s_cbranch_execnz .LBB4_154
; %bb.155:                              ;   in Loop: Header=BB4_63 Depth=2
	s_or_b32 exec_lo, exec_lo, s40
.LBB4_156:                              ;   in Loop: Header=BB4_63 Depth=2
	s_delay_alu instid0(SALU_CYCLE_1) | instskip(SKIP_3) | instid1(VALU_DEP_1)
	s_or_b32 exec_lo, exec_lo, s19
	v_dual_mov_b32 v11, 0 :: v_dual_and_b32 v52, 8, v2
	s_mov_b32 s14, 0
	s_mov_b32 s19, exec_lo
                                        ; implicit-def: $vgpr54
                                        ; implicit-def: $vgpr68
	v_cndmask_b32_e32 v2, v67, v52, vcc_lo
	s_delay_alu instid0(VALU_DEP_1)
	v_cmpx_ne_u32_e32 0, v2
; %bb.157:                              ;   in Loop: Header=BB4_63 Depth=2
	v_cmp_lt_i32_e64 s13, 0, v69
	v_sub_nc_u32_e32 v52, v67, v52
	s_mov_b32 s14, exec_lo
	s_delay_alu instid0(VALU_DEP_2) | instskip(NEXT) | instid1(VALU_DEP_1)
	v_cndmask_b32_e64 v11, 0, v86, s13
	v_sub_nc_u32_e32 v11, v11, v69
	s_delay_alu instid0(VALU_DEP_1) | instskip(NEXT) | instid1(VALU_DEP_1)
	v_lshl_add_u32 v54, v11, 5, v65
	v_ashrrev_i32_e32 v11, 31, v54
	s_delay_alu instid0(VALU_DEP_1) | instskip(NEXT) | instid1(VALU_DEP_1)
	v_lshrrev_b32_e32 v11, 27, v11
	v_dual_cndmask_b32 v52, 0, v52 :: v_dual_add_nc_u32 v53, v54, v11
	s_delay_alu instid0(VALU_DEP_1) | instskip(NEXT) | instid1(VALU_DEP_2)
	v_add3_u32 v11, v64, v55, v52
	v_ashrrev_i32_e32 v68, 5, v53
; %bb.158:                              ;   in Loop: Header=BB4_63 Depth=2
	s_or_b32 exec_lo, exec_lo, s19
	s_delay_alu instid0(SALU_CYCLE_1)
	s_and_b32 s13, s14, exec_lo
.LBB4_159:                              ;   in Loop: Header=BB4_63 Depth=2
	s_or_b32 exec_lo, exec_lo, s3
.LBB4_160:                              ;   in Loop: Header=BB4_63 Depth=2
	s_and_saveexec_b32 s3, s13
	s_cbranch_execz .LBB4_172
; %bb.161:                              ;   in Loop: Header=BB4_63 Depth=2
	v_ashrrev_i32_e32 v52, 31, v2
	s_mov_b32 s14, exec_lo
	s_delay_alu instid0(VALU_DEP_1) | instskip(NEXT) | instid1(VALU_DEP_1)
	v_lshrrev_b32_e32 v52, 23, v52
	v_add_nc_u32_e32 v52, v2, v52
	s_delay_alu instid0(VALU_DEP_1) | instskip(NEXT) | instid1(VALU_DEP_1)
	v_ashrrev_i32_e32 v64, 9, v52
	v_sub_nc_u32_e32 v55, v64, v68
	s_delay_alu instid0(VALU_DEP_1)
	v_cmpx_lt_i32_e32 0, v55
	s_cbranch_execz .LBB4_166
; %bb.162:                              ;   in Loop: Header=BB4_63 Depth=2
	s_cbranch_execnz .LBB4_1591
; %bb.163:                              ;   in Loop: Header=BB4_63 Depth=2
	v_ashrrev_i32_e32 v52, 31, v54
	v_lshlrev_b32_e32 v67, 9, v68
	s_mov_b32 s19, 0
	s_delay_alu instid0(VALU_DEP_2) | instskip(NEXT) | instid1(VALU_DEP_1)
	v_lshrrev_b32_e32 v52, 27, v52
	v_add_nc_u32_e32 v52, v54, v52
	s_delay_alu instid0(VALU_DEP_1) | instskip(NEXT) | instid1(VALU_DEP_1)
	v_and_b32_e32 v52, 0x1fffffe0, v52
	v_sub_nc_u32_e32 v65, v54, v52
	ds_load_b64 v[52:53], v0
	v_lshlrev_b32_e32 v65, 3, v65
	s_delay_alu instid0(VALU_DEP_1) | instskip(NEXT) | instid1(VALU_DEP_1)
	v_add3_u32 v65, v65, v11, v67
	v_ashrrev_i32_e32 v67, 31, v65
.LBB4_164:                              ;   Parent Loop BB4_55 Depth=1
                                        ;     Parent Loop BB4_63 Depth=2
                                        ; =>    This Inner Loop Header: Depth=3
	s_waitcnt lgkmcnt(0)
	v_add_co_u32 v68, vcc_lo, v52, v65
	s_delay_alu instid0(VALU_DEP_2)
	v_add_co_ci_u32_e32 v69, vcc_lo, v53, v67, vcc_lo
	v_sub_nc_u32_e32 v55, v55, v86
	v_add_co_u32 v65, s13, v65, v114
	s_clause 0x1
	flat_load_b64 v[80:81], v[68:69] slc dlc
	flat_load_b64 v[82:83], v[68:69] offset:256 slc dlc
	v_add_co_ci_u32_e64 v67, s13, v67, v115, s13
	v_cmp_gt_i32_e32 vcc_lo, 1, v55
	s_waitcnt vmcnt(1) lgkmcnt(1)
	flat_store_b64 v[68:69], v[80:81] glc slc dlc
	s_waitcnt vmcnt(0) lgkmcnt(1)
	flat_store_b64 v[68:69], v[82:83] offset:256 glc slc dlc
	s_or_b32 s19, vcc_lo, s19
	s_delay_alu instid0(SALU_CYCLE_1)
	s_and_not1_b32 exec_lo, exec_lo, s19
	s_cbranch_execnz .LBB4_164
; %bb.165:                              ;   in Loop: Header=BB4_63 Depth=2
	s_or_b32 exec_lo, exec_lo, s19
.LBB4_166:                              ;   in Loop: Header=BB4_63 Depth=2
	s_delay_alu instid0(SALU_CYCLE_1) | instskip(SKIP_2) | instid1(VALU_DEP_1)
	s_or_b32 exec_lo, exec_lo, s14
	v_lshlrev_b32_e32 v52, 9, v64
	s_mov_b32 s14, exec_lo
	v_cmpx_ne_u32_e64 v2, v52
	s_cbranch_execz .LBB4_171
; %bb.167:                              ;   in Loop: Header=BB4_63 Depth=2
	v_ashrrev_i32_e32 v53, 31, v54
	s_delay_alu instid0(VALU_DEP_1) | instskip(NEXT) | instid1(VALU_DEP_1)
	v_lshrrev_b32_e32 v53, 27, v53
	v_add_nc_u32_e32 v53, v54, v53
	s_delay_alu instid0(VALU_DEP_1) | instskip(NEXT) | instid1(VALU_DEP_1)
	v_and_b32_e32 v53, 0xffffffe0, v53
	v_sub_nc_u32_e32 v53, v54, v53
	v_lshlrev_b32_e32 v54, 5, v55
	s_delay_alu instid0(VALU_DEP_1) | instskip(NEXT) | instid1(VALU_DEP_1)
	v_sub_nc_u32_e32 v53, v53, v54
	v_ashrrev_i32_e32 v54, 31, v53
	s_delay_alu instid0(VALU_DEP_1) | instskip(NEXT) | instid1(VALU_DEP_1)
	v_lshrrev_b32_e32 v54, 27, v54
	v_add_nc_u32_e32 v54, v53, v54
	s_delay_alu instid0(VALU_DEP_1) | instskip(SKIP_1) | instid1(VALU_DEP_2)
	v_and_b32_e32 v55, 0x1fffffe0, v54
	v_lshlrev_b32_e32 v54, 3, v54
	v_sub_nc_u32_e32 v53, v53, v55
	s_delay_alu instid0(VALU_DEP_2) | instskip(NEXT) | instid1(VALU_DEP_2)
	v_and_b32_e32 v54, 0xffffff00, v54
	v_lshlrev_b32_e32 v53, 3, v53
	s_delay_alu instid0(VALU_DEP_1) | instskip(NEXT) | instid1(VALU_DEP_1)
	v_add3_u32 v54, v54, v53, v52
	v_sub_nc_u32_e32 v2, v2, v54
	s_delay_alu instid0(VALU_DEP_1)
	v_cmp_lt_i32_e32 vcc_lo, 7, v2
	s_and_b32 exec_lo, exec_lo, vcc_lo
	s_cbranch_execz .LBB4_171
; %bb.168:                              ;   in Loop: Header=BB4_63 Depth=2
	s_cbranch_execnz .LBB4_1653
; %bb.169:                              ;   in Loop: Header=BB4_63 Depth=2
	ds_load_b64 v[52:53], v0
	v_add_nc_u32_e32 v11, v54, v11
	s_mov_b32 s19, 0
	s_delay_alu instid0(VALU_DEP_1)
	v_ashrrev_i32_e32 v54, 31, v11
.LBB4_170:                              ;   Parent Loop BB4_55 Depth=1
                                        ;     Parent Loop BB4_63 Depth=2
                                        ; =>    This Inner Loop Header: Depth=3
	s_waitcnt lgkmcnt(0)
	v_add_co_u32 v64, vcc_lo, v52, v11
	s_delay_alu instid0(VALU_DEP_2)
	v_add_co_ci_u32_e32 v65, vcc_lo, v53, v54, vcc_lo
	v_sub_nc_u32_e32 v2, v2, v101
	v_add_co_u32 v11, s13, v11, v117
	flat_load_b64 v[67:68], v[64:65] slc dlc
	v_add_co_ci_u32_e64 v54, s13, v54, v118, s13
	v_cmp_gt_i32_e32 vcc_lo, 8, v2
	s_or_b32 s19, vcc_lo, s19
	s_waitcnt vmcnt(0) lgkmcnt(0)
	flat_store_b64 v[64:65], v[67:68] glc slc dlc
	s_and_not1_b32 exec_lo, exec_lo, s19
	s_cbranch_execnz .LBB4_170
.LBB4_171:                              ;   in Loop: Header=BB4_63 Depth=2
	s_or_b32 exec_lo, exec_lo, s14
.LBB4_172:                              ;   in Loop: Header=BB4_63 Depth=2
	s_delay_alu instid0(SALU_CYCLE_1)
	s_or_b32 exec_lo, exec_lo, s3
	s_mov_b32 s14, s12
	s_mov_b32 s12, s5
.LBB4_173:                              ;   in Loop: Header=BB4_63 Depth=2
	s_and_saveexec_b32 s5, s38
	s_cbranch_execz .LBB4_195
; %bb.174:                              ;   in Loop: Header=BB4_63 Depth=2
	s_mov_b32 s13, s37
	s_mov_b32 s3, s4
	s_and_saveexec_b32 s19, s4
	s_delay_alu instid0(SALU_CYCLE_1)
	s_xor_b32 s4, exec_lo, s19
	s_cbranch_execz .LBB4_192
; %bb.175:                              ;   in Loop: Header=BB4_63 Depth=2
	s_and_saveexec_b32 s19, s1
	s_cbranch_execz .LBB4_191
; %bb.176:                              ;   in Loop: Header=BB4_63 Depth=2
	s_mov_b32 s40, exec_lo
	s_mov_b32 s37, exec_lo
	v_mbcnt_lo_u32_b32 v2, s40, 0
	s_waitcnt lgkmcnt(0)
	s_waitcnt_vscnt null, 0x0
	buffer_gl1_inv
	buffer_gl0_inv
	v_cmpx_eq_u32_e32 0, v2
	s_cbranch_execz .LBB4_178
; %bb.177:                              ;   in Loop: Header=BB4_63 Depth=2
	s_bcnt1_i32_b32 vcc_lo, s40
	s_delay_alu instid0(SALU_CYCLE_1)
	v_mov_b32_e32 v2, vcc_lo
	ds_add_u64 v0, v[2:3]
	s_cbranch_execnz .LBB4_1627
.LBB4_178:                              ;   in Loop: Header=BB4_63 Depth=2
	s_or_b32 exec_lo, exec_lo, s37
	s_cbranch_execnz .LBB4_1605
; %bb.179:                              ;   in Loop: Header=BB4_63 Depth=2
	ds_load_b64 v[52:53], v0
	v_add_co_u32 v12, vcc_lo, v12, v86
	v_add_co_ci_u32_e32 v13, vcc_lo, 0, v13, vcc_lo
	s_mov_b32 s37, exec_lo
	s_waitcnt lgkmcnt(0)
	s_delay_alu instid0(VALU_DEP_1)
	v_cmpx_lt_u64_e64 v[52:53], v[12:13]
	s_cbranch_execz .LBB4_190
; %bb.180:                              ;   in Loop: Header=BB4_63 Depth=2
	s_mov_b32 s40, 0
	s_mov_b32 s43, 0
                                        ; implicit-def: $sgpr41
                                        ; implicit-def: $sgpr42
	s_branch .LBB4_182
.LBB4_181:                              ;   in Loop: Header=BB4_182 Depth=3
	s_or_b32 exec_lo, exec_lo, s45
	s_delay_alu instid0(SALU_CYCLE_1) | instskip(NEXT) | instid1(SALU_CYCLE_1)
	s_and_b32 vcc_lo, exec_lo, vcc_lo
	s_or_b32 s40, vcc_lo, s40
	s_and_not1_b32 vcc_lo, s41, exec_lo
	s_and_b32 s41, s42, exec_lo
	s_delay_alu instid0(SALU_CYCLE_1)
	s_or_b32 s41, vcc_lo, s41
	s_and_not1_b32 exec_lo, exec_lo, s40
	s_cbranch_execz .LBB4_188
.LBB4_182:                              ;   Parent Loop BB4_55 Depth=1
                                        ;     Parent Loop BB4_63 Depth=2
                                        ; =>    This Inner Loop Header: Depth=3
	s_add_i32 s43, s43, 1
                                        ; implicit-def: $sgpr45
	s_delay_alu instid0(SALU_CYCLE_1) | instskip(SKIP_1) | instid1(SALU_CYCLE_1)
	s_cmpk_lg_i32 s43, 0x2710
	s_cselect_b32 s44, -1, 0
	s_and_b32 vcc_lo, exec_lo, s44
	s_cbranch_vccz .LBB4_186
.LBB4_183:                              ;   in Loop: Header=BB4_182 Depth=3
	s_and_not1_b32 s42, s42, exec_lo
	s_and_b32 s45, s45, exec_lo
	s_mov_b32 vcc_lo, -1
	s_or_b32 s42, s42, s45
	s_and_saveexec_b32 s45, s44
	s_cbranch_execz .LBB4_181
; %bb.184:                              ;   in Loop: Header=BB4_182 Depth=3
	s_sleep 1
	s_cbranch_execnz .LBB4_1679
; %bb.185:                              ;   in Loop: Header=BB4_182 Depth=3
	ds_load_b64 v[52:53], v0
	s_and_not1_b32 s42, s42, exec_lo
	s_waitcnt lgkmcnt(0)
	v_cmp_ge_u64_e32 vcc_lo, v[52:53], v[12:13]
	s_or_not1_b32 vcc_lo, vcc_lo, exec_lo
	s_branch .LBB4_181
.LBB4_186:                              ;   in Loop: Header=BB4_182 Depth=3
	s_cbranch_execnz .LBB4_1689
; %bb.187:                              ;   in Loop: Header=BB4_182 Depth=3
	ds_load_b64 v[52:53], v0
	s_and_not1_b32 s44, s44, exec_lo
	s_mov_b32 s43, 0
	s_mov_b32 s45, -1
	s_waitcnt lgkmcnt(0)
	flat_load_b32 v2, v[52:53] glc
	s_waitcnt vmcnt(0) lgkmcnt(0)
	buffer_gl1_inv
	buffer_gl0_inv
	v_cmp_eq_u32_e32 vcc_lo, 0, v2
	s_and_b32 vcc_lo, vcc_lo, exec_lo
	s_delay_alu instid0(SALU_CYCLE_1)
	s_or_b32 s44, s44, vcc_lo
	s_branch .LBB4_183
.LBB4_188:                              ;   in Loop: Header=BB4_63 Depth=2
	s_or_b32 exec_lo, exec_lo, s40
	s_and_saveexec_b32 vcc_lo, s41
	s_delay_alu instid0(SALU_CYCLE_1)
	s_xor_b32 vcc_lo, exec_lo, vcc_lo
	s_cbranch_execz .LBB4_190
; %bb.189:                              ;   in Loop: Header=BB4_63 Depth=2
	ds_store_b32 v0, v131
	s_cbranch_execnz .LBB4_1903
.LBB4_190:                              ;   in Loop: Header=BB4_63 Depth=2
	s_or_b32 exec_lo, exec_lo, s37
	;;#ASMSTART
	s_wakeup
	;;#ASMEND
.LBB4_191:                              ;   in Loop: Header=BB4_63 Depth=2
	s_or_b32 exec_lo, exec_lo, s19
.LBB4_192:                              ;   in Loop: Header=BB4_63 Depth=2
	s_and_not1_saveexec_b32 s4, s4
	s_cbranch_execz .LBB4_194
; %bb.193:                              ;   in Loop: Header=BB4_63 Depth=2
	s_waitcnt lgkmcnt(0)
	s_waitcnt_vscnt null, 0x0
	buffer_gl1_inv
	buffer_gl0_inv
	s_barrier
.LBB4_194:                              ;   in Loop: Header=BB4_63 Depth=2
	s_or_b32 exec_lo, exec_lo, s4
	s_mov_b32 s37, s13
	s_mov_b32 s4, s3
.LBB4_195:                              ;   in Loop: Header=BB4_63 Depth=2
	s_or_b32 exec_lo, exec_lo, s5
                                        ; implicit-def: $vgpr2
	s_and_saveexec_b32 s3, s7
	s_delay_alu instid0(SALU_CYCLE_1)
	s_xor_b32 s3, exec_lo, s3
	s_cbranch_execz .LBB4_199
; %bb.196:                              ;   in Loop: Header=BB4_63 Depth=2
	v_and_b32_e32 v2, 16, v30
	v_cmp_lt_i32_e32 vcc_lo, 0, v9
	s_delay_alu instid0(VALU_DEP_2) | instskip(SKIP_1) | instid1(VALU_DEP_2)
	v_cmp_ne_u32_e64 s13, 0, v2
	v_and_b32_e32 v2, 16, v30
	s_and_b32 s13, s13, vcc_lo
	s_delay_alu instid0(SALU_CYCLE_1)
	s_and_saveexec_b32 s5, s13
	s_cbranch_execz .LBB4_198
; %bb.197:                              ;   in Loop: Header=BB4_63 Depth=2
	v_mov_b32_e32 v2, 1
	s_waitcnt lgkmcnt(0)
	s_waitcnt_vscnt null, 0x0
	buffer_gl1_inv
	buffer_gl0_inv
.LBB4_198:                              ;   in Loop: Header=BB4_63 Depth=2
	s_or_b32 exec_lo, exec_lo, s5
.LBB4_199:                              ;   in Loop: Header=BB4_63 Depth=2
	s_and_not1_saveexec_b32 s5, s3
	s_cbranch_execz .LBB4_221
; %bb.200:                              ;   in Loop: Header=BB4_63 Depth=2
	s_mov_b32 s13, s37
	s_mov_b32 s3, s4
	s_and_saveexec_b32 s19, s4
	s_delay_alu instid0(SALU_CYCLE_1)
	s_xor_b32 s4, exec_lo, s19
	s_cbranch_execz .LBB4_218
; %bb.201:                              ;   in Loop: Header=BB4_63 Depth=2
	s_and_saveexec_b32 s19, s1
	s_cbranch_execz .LBB4_217
; %bb.202:                              ;   in Loop: Header=BB4_63 Depth=2
	s_mov_b32 s40, exec_lo
	s_mov_b32 s37, exec_lo
	v_mbcnt_lo_u32_b32 v2, s40, 0
	;;#ASMSTART
	s_waitcnt lgkmcnt(0) vmcnt(0)
	;;#ASMEND
	s_delay_alu instid0(VALU_DEP_1)
	v_cmpx_eq_u32_e32 0, v2
	s_cbranch_execz .LBB4_204
; %bb.203:                              ;   in Loop: Header=BB4_63 Depth=2
	s_bcnt1_i32_b32 vcc_lo, s40
	s_delay_alu instid0(SALU_CYCLE_1)
	v_mov_b32_e32 v2, vcc_lo
	ds_add_u64 v0, v[2:3]
	s_cbranch_execnz .LBB4_1635
.LBB4_204:                              ;   in Loop: Header=BB4_63 Depth=2
	s_or_b32 exec_lo, exec_lo, s37
	s_cbranch_execnz .LBB4_1611
; %bb.205:                              ;   in Loop: Header=BB4_63 Depth=2
	ds_load_b64 v[52:53], v0
	v_add_co_u32 v12, vcc_lo, v12, v86
	v_add_co_ci_u32_e32 v13, vcc_lo, 0, v13, vcc_lo
	s_mov_b32 s37, exec_lo
	s_waitcnt lgkmcnt(0)
	s_delay_alu instid0(VALU_DEP_1)
	v_cmpx_lt_u64_e64 v[52:53], v[12:13]
	s_cbranch_execz .LBB4_216
; %bb.206:                              ;   in Loop: Header=BB4_63 Depth=2
	s_mov_b32 s40, 0
	s_mov_b32 s43, 0
                                        ; implicit-def: $sgpr41
                                        ; implicit-def: $sgpr42
	s_branch .LBB4_208
.LBB4_207:                              ;   in Loop: Header=BB4_208 Depth=3
	s_or_b32 exec_lo, exec_lo, s45
	s_delay_alu instid0(SALU_CYCLE_1) | instskip(NEXT) | instid1(SALU_CYCLE_1)
	s_and_b32 vcc_lo, exec_lo, vcc_lo
	s_or_b32 s40, vcc_lo, s40
	s_and_not1_b32 vcc_lo, s41, exec_lo
	s_and_b32 s41, s42, exec_lo
	s_delay_alu instid0(SALU_CYCLE_1)
	s_or_b32 s41, vcc_lo, s41
	s_and_not1_b32 exec_lo, exec_lo, s40
	s_cbranch_execz .LBB4_214
.LBB4_208:                              ;   Parent Loop BB4_55 Depth=1
                                        ;     Parent Loop BB4_63 Depth=2
                                        ; =>    This Inner Loop Header: Depth=3
	s_add_i32 s43, s43, 1
                                        ; implicit-def: $sgpr45
	s_delay_alu instid0(SALU_CYCLE_1) | instskip(SKIP_1) | instid1(SALU_CYCLE_1)
	s_cmpk_lg_i32 s43, 0x2710
	s_cselect_b32 s44, -1, 0
	s_and_b32 vcc_lo, exec_lo, s44
	s_cbranch_vccz .LBB4_212
.LBB4_209:                              ;   in Loop: Header=BB4_208 Depth=3
	s_and_not1_b32 s42, s42, exec_lo
	s_and_b32 s45, s45, exec_lo
	s_mov_b32 vcc_lo, -1
	s_or_b32 s42, s42, s45
	s_and_saveexec_b32 s45, s44
	s_cbranch_execz .LBB4_207
; %bb.210:                              ;   in Loop: Header=BB4_208 Depth=3
	s_sleep 1
	s_cbranch_execnz .LBB4_1683
; %bb.211:                              ;   in Loop: Header=BB4_208 Depth=3
	ds_load_b64 v[52:53], v0
	s_and_not1_b32 s42, s42, exec_lo
	s_waitcnt lgkmcnt(0)
	v_cmp_ge_u64_e32 vcc_lo, v[52:53], v[12:13]
	s_or_not1_b32 vcc_lo, vcc_lo, exec_lo
	s_branch .LBB4_207
.LBB4_212:                              ;   in Loop: Header=BB4_208 Depth=3
	s_cbranch_execnz .LBB4_1703
; %bb.213:                              ;   in Loop: Header=BB4_208 Depth=3
	ds_load_b64 v[52:53], v0
	s_and_not1_b32 s44, s44, exec_lo
	s_mov_b32 s43, 0
	s_mov_b32 s45, -1
	s_waitcnt lgkmcnt(0)
	s_waitcnt_vscnt null, 0x0
	flat_load_b32 v2, v[52:53] glc
	s_waitcnt vmcnt(0) lgkmcnt(0)
	buffer_gl1_inv
	buffer_gl0_inv
	v_cmp_eq_u32_e32 vcc_lo, 0, v2
	s_and_b32 vcc_lo, vcc_lo, exec_lo
	s_delay_alu instid0(SALU_CYCLE_1)
	s_or_b32 s44, s44, vcc_lo
	s_branch .LBB4_209
.LBB4_214:                              ;   in Loop: Header=BB4_63 Depth=2
	s_or_b32 exec_lo, exec_lo, s40
	s_and_saveexec_b32 vcc_lo, s41
	s_delay_alu instid0(SALU_CYCLE_1)
	s_xor_b32 vcc_lo, exec_lo, vcc_lo
	s_cbranch_execz .LBB4_216
; %bb.215:                              ;   in Loop: Header=BB4_63 Depth=2
	ds_store_b32 v0, v131
	s_cbranch_execnz .LBB4_1907
.LBB4_216:                              ;   in Loop: Header=BB4_63 Depth=2
	s_or_b32 exec_lo, exec_lo, s37
	;;#ASMSTART
	s_wakeup
	;;#ASMEND
.LBB4_217:                              ;   in Loop: Header=BB4_63 Depth=2
	s_or_b32 exec_lo, exec_lo, s19
.LBB4_218:                              ;   in Loop: Header=BB4_63 Depth=2
	s_and_not1_saveexec_b32 s4, s4
	s_cbranch_execz .LBB4_220
; %bb.219:                              ;   in Loop: Header=BB4_63 Depth=2
	;;#ASMSTART
	s_waitcnt lgkmcnt(0) vmcnt(0)
	;;#ASMEND
	s_waitcnt lgkmcnt(0)
	s_waitcnt_vscnt null, 0x0
	s_barrier
.LBB4_220:                              ;   in Loop: Header=BB4_63 Depth=2
	s_or_b32 exec_lo, exec_lo, s4
	v_and_b32_e32 v2, 16, v30
	s_mov_b32 s37, s13
	s_mov_b32 s4, s3
.LBB4_221:                              ;   in Loop: Header=BB4_63 Depth=2
	s_or_b32 exec_lo, exec_lo, s5
	s_delay_alu instid0(SALU_CYCLE_1)
	s_mov_b32 s3, exec_lo
	v_cmpx_ne_u32_e32 0, v2
	s_cbranch_execz .LBB4_225
; %bb.222:                              ;   in Loop: Header=BB4_63 Depth=2
	s_and_saveexec_b32 s5, s11
	s_cbranch_execz .LBB4_224
; %bb.223:                              ;   in Loop: Header=BB4_63 Depth=2
	s_waitcnt lgkmcnt(0)
	s_waitcnt_vscnt null, 0x0
	flat_store_b32 v[26:27], v131
.LBB4_224:                              ;   in Loop: Header=BB4_63 Depth=2
	s_or_b32 exec_lo, exec_lo, s5
	v_add_co_u32 v22, vcc_lo, v22, 2
	v_add_co_ci_u32_e32 v23, vcc_lo, 0, v23, vcc_lo
	s_waitcnt lgkmcnt(0)
	s_waitcnt_vscnt null, 0x0
	flat_store_b64 v[20:21], v[22:23]
.LBB4_225:                              ;   in Loop: Header=BB4_63 Depth=2
	s_or_b32 exec_lo, exec_lo, s3
	v_add_nc_u32_e32 v10, v8, v10
	s_xor_b32 s3, s17, -1
	v_mov_b32_e32 v2, s12
	s_mov_b32 s17, 0
	s_mov_b32 s12, 2
	v_cmp_ge_i32_e32 vcc_lo, v10, v66
	s_or_b32 s3, s3, vcc_lo
	s_delay_alu instid0(SALU_CYCLE_1) | instskip(NEXT) | instid1(SALU_CYCLE_1)
	s_and_b32 s3, exec_lo, s3
	s_or_b32 s16, s3, s16
	s_delay_alu instid0(SALU_CYCLE_1)
	s_and_not1_b32 exec_lo, exec_lo, s16
	s_cbranch_execnz .LBB4_63
; %bb.226:                              ;   in Loop: Header=BB4_55 Depth=1
	s_or_b32 exec_lo, exec_lo, s16
	s_mov_b32 s5, s6
	s_mov_b32 s6, s21
.LBB4_227:                              ;   in Loop: Header=BB4_55 Depth=1
	s_or_b32 exec_lo, exec_lo, s15
	s_delay_alu instid0(SALU_CYCLE_1)
	s_mov_b32 s12, exec_lo
	v_cmpx_gt_i32_e32 2, v2
	s_cbranch_execz .LBB4_310
; %bb.228:                              ;   in Loop: Header=BB4_55 Depth=1
	v_cmp_eq_u32_e64 s13, 0, v2
	s_mov_b32 s15, 0
.LBB4_229:                              ;   Parent Loop BB4_55 Depth=1
                                        ; =>  This Loop Header: Depth=2
                                        ;       Child Loop BB4_235 Depth 3
                                        ;       Child Loop BB4_264 Depth 3
	;; [unrolled: 1-line block ×3, first 2 shown]
	v_and_b32_e32 v2, 8, v30
	s_mov_b32 s16, -1
	s_mov_b32 s3, exec_lo
	s_delay_alu instid0(VALU_DEP_1)
	v_cmpx_ne_u32_e32 0, v2
	s_cbranch_execz .LBB4_243
; %bb.230:                              ;   in Loop: Header=BB4_229 Depth=2
	v_add_co_u32 v52, vcc_lo, v28, 8
	v_add_co_ci_u32_e32 v53, vcc_lo, 0, v29, vcc_lo
	v_add_co_u32 v50, vcc_lo, v22, 2
	v_add_co_ci_u32_e32 v51, vcc_lo, 0, v23, vcc_lo
	v_mov_b32_e32 v2, 1
	s_mov_b32 s16, exec_lo
	s_delay_alu instid0(VALU_DEP_2)
	v_cmpx_lt_u64_e64 v[52:53], v[50:51]
	s_cbranch_execz .LBB4_242
; %bb.231:                              ;   in Loop: Header=BB4_229 Depth=2
	v_mov_b32_e32 v2, 0
	s_mov_b32 s17, 0
                                        ; implicit-def: $sgpr19
	s_branch .LBB4_235
.LBB4_232:                              ;   in Loop: Header=BB4_235 Depth=3
	s_or_b32 exec_lo, exec_lo, s42
	v_mov_b32_e32 v9, 0
	s_or_not1_b32 s41, s41, exec_lo
.LBB4_233:                              ;   in Loop: Header=BB4_235 Depth=3
	s_or_b32 exec_lo, exec_lo, s40
	s_delay_alu instid0(VALU_DEP_1) | instskip(SKIP_2) | instid1(SALU_CYCLE_1)
	v_mov_b32_e32 v2, v9
	s_and_not1_b32 s19, s19, exec_lo
	s_and_b32 vcc_lo, s41, exec_lo
	s_or_b32 s19, s19, vcc_lo
.LBB4_234:                              ;   in Loop: Header=BB4_235 Depth=3
	s_or_b32 exec_lo, exec_lo, s21
	s_waitcnt vmcnt(0) lgkmcnt(0)
	v_add_co_u32 v52, vcc_lo, v28, 8
	v_add_co_ci_u32_e32 v53, vcc_lo, 0, v29, vcc_lo
	s_xor_b32 s21, s19, -1
	s_delay_alu instid0(VALU_DEP_1) | instskip(SKIP_1) | instid1(SALU_CYCLE_1)
	v_cmp_ge_u64_e32 vcc_lo, v[52:53], v[50:51]
	s_or_b32 s21, s21, vcc_lo
	s_and_b32 s21, exec_lo, s21
	s_delay_alu instid0(SALU_CYCLE_1) | instskip(NEXT) | instid1(SALU_CYCLE_1)
	s_or_b32 s17, s21, s17
	s_and_not1_b32 exec_lo, exec_lo, s17
	s_cbranch_execz .LBB4_241
.LBB4_235:                              ;   Parent Loop BB4_55 Depth=1
                                        ;     Parent Loop BB4_229 Depth=2
                                        ; =>    This Inner Loop Header: Depth=3
	s_sleep 1
	flat_load_b64 v[28:29], v[20:21] glc
	v_and_b32_e32 v9, 64, v30
	s_and_not1_b32 s19, s19, exec_lo
	s_mov_b32 s21, exec_lo
	s_delay_alu instid0(VALU_DEP_1)
	v_cmpx_eq_u32_e32 0, v9
	s_cbranch_execz .LBB4_234
; %bb.236:                              ;   in Loop: Header=BB4_235 Depth=3
	v_add_nc_u32_e32 v9, 1, v2
	s_mov_b32 s41, -1
	s_mov_b32 s40, exec_lo
	v_cmpx_lt_i32_e32 0x270e, v2
	s_cbranch_execz .LBB4_233
; %bb.237:                              ;   in Loop: Header=BB4_235 Depth=3
	s_cbranch_execnz .LBB4_1510
; %bb.238:                              ;   in Loop: Header=BB4_235 Depth=3
	ds_load_b64 v[52:53], v0
	s_mov_b32 s42, exec_lo
	s_waitcnt vmcnt(0) lgkmcnt(0)
	s_waitcnt_vscnt null, 0x0
	flat_load_b32 v2, v[52:53] glc
	s_waitcnt vmcnt(0) lgkmcnt(0)
	buffer_gl1_inv
	buffer_gl0_inv
	v_cmpx_ne_u32_e32 0, v2
	s_cbranch_execz .LBB4_232
; %bb.239:                              ;   in Loop: Header=BB4_235 Depth=3
	ds_store_b32 v0, v2
	s_cbranch_execnz .LBB4_1522
; %bb.240:                              ;   in Loop: Header=BB4_235 Depth=3
	v_or_b32_e32 v30, 64, v30
	s_xor_b32 s41, exec_lo, -1
	s_branch .LBB4_232
.LBB4_241:                              ;   in Loop: Header=BB4_229 Depth=2
	s_or_b32 exec_lo, exec_lo, s17
	v_and_b32_e32 v2, 8, v30
.LBB4_242:                              ;   in Loop: Header=BB4_229 Depth=2
	s_or_b32 exec_lo, exec_lo, s16
	s_delay_alu instid0(VALU_DEP_1)
	v_cmp_eq_u32_e32 vcc_lo, 0, v2
	;;#ASMSTART
	s_wakeup
	;;#ASMEND
	s_or_not1_b32 s16, vcc_lo, exec_lo
.LBB4_243:                              ;   in Loop: Header=BB4_229 Depth=2
	s_or_b32 exec_lo, exec_lo, s3
	v_sub_nc_u32_e32 v2, v66, v10
	s_xor_b32 s3, s13, -1
	s_delay_alu instid0(SALU_CYCLE_1) | instskip(NEXT) | instid1(SALU_CYCLE_1)
	s_and_b32 s3, exec_lo, s3
	s_or_b32 s15, s3, s15
	s_delay_alu instid0(VALU_DEP_1) | instskip(SKIP_1) | instid1(SALU_CYCLE_1)
	v_min_i32_e32 v8, v8, v2
	s_xor_b32 s13, s16, -1
	s_and_saveexec_b32 s3, s13
	s_cbranch_execz .LBB4_253
; %bb.244:                              ;   in Loop: Header=BB4_229 Depth=2
	v_and_b32_e32 v2, 0x100, v30
	v_and_b32_e32 v50, 7, v22
	s_mov_b32 s16, 0
	s_mov_b32 s13, exec_lo
                                        ; implicit-def: $vgpr52_vgpr53
	s_delay_alu instid0(VALU_DEP_2)
	v_cmpx_ne_u32_e32 0, v2
	s_xor_b32 s13, exec_lo, s13
	s_cbranch_execz .LBB4_261
; %bb.245:                              ;   in Loop: Header=BB4_229 Depth=2
	v_mad_u64_u32 v[54:55], null, v50, 24, v[6:7]
	v_ashrrev_i32_e32 v9, 31, v8
	s_mov_b32 s16, -1
	s_mov_b32 s17, exec_lo
	s_delay_alu instid0(VALU_DEP_1)
	v_lshlrev_b64 v[51:52], 3, v[8:9]
	flat_load_b32 v2, v[54:55]
	flat_store_b64 v[54:55], v[51:52] offset:8
                                        ; implicit-def: $vgpr52_vgpr53
	s_waitcnt vmcnt(0) lgkmcnt(1)
	v_cmpx_eq_u32_e32 1, v2
	s_cbranch_execz .LBB4_247
; %bb.246:                              ;   in Loop: Header=BB4_229 Depth=2
	flat_load_b32 v50, v[54:55] offset:4 glc
	s_xor_b32 s16, exec_lo, -1
	s_waitcnt vmcnt(0) lgkmcnt(0)
	v_ashrrev_i32_e32 v51, 31, v50
	s_delay_alu instid0(VALU_DEP_1)
	v_lshrrev_b64 v[52:53], 3, v[50:51]
                                        ; implicit-def: $vgpr50_vgpr51
.LBB4_247:                              ;   in Loop: Header=BB4_229 Depth=2
	s_or_b32 exec_lo, exec_lo, s17
	s_delay_alu instid0(SALU_CYCLE_1)
	s_and_b32 s16, s16, exec_lo
	s_and_not1_saveexec_b32 s13, s13
	s_cbranch_execnz .LBB4_262
.LBB4_248:                              ;   in Loop: Header=BB4_229 Depth=2
	s_or_b32 exec_lo, exec_lo, s13
	s_and_saveexec_b32 s13, s16
.LBB4_249:                              ;   in Loop: Header=BB4_229 Depth=2
	v_mul_lo_u32 v2, v3, v84
	v_mul_lo_u32 v9, v50, v85
	v_mad_u64_u32 v[52:53], null, v50, v84, 0
	s_delay_alu instid0(VALU_DEP_1)
	v_add3_u32 v53, v53, v9, v2
.LBB4_250:                              ;   in Loop: Header=BB4_229 Depth=2
	s_or_b32 exec_lo, exec_lo, s13
	s_delay_alu instid0(VALU_DEP_1) | instskip(SKIP_2) | instid1(VALU_DEP_2)
	v_lshlrev_b64 v[50:51], 3, v[52:53]
	v_and_b32_e32 v2, 0x2000, v30
	s_mov_b32 s13, exec_lo
	v_add_co_u32 v50, vcc_lo, v24, v50
	s_delay_alu instid0(VALU_DEP_3)
	v_add_co_ci_u32_e32 v51, vcc_lo, v25, v51, vcc_lo
	ds_store_b64 v0, v[50:51] offset:784
	v_cmpx_ne_u32_e32 0, v2
	s_cbranch_execz .LBB4_252
; %bb.251:                              ;   in Loop: Header=BB4_229 Depth=2
	ds_load_b64 v[50:51], v0 offset:584
	s_waitcnt lgkmcnt(0)
	v_add_co_u32 v50, vcc_lo, v50, 1
	v_add_co_ci_u32_e32 v51, vcc_lo, 0, v51, vcc_lo
	ds_store_b64 v0, v[50:51] offset:584
.LBB4_252:                              ;   in Loop: Header=BB4_229 Depth=2
	s_or_b32 exec_lo, exec_lo, s13
	v_add_co_u32 v22, vcc_lo, v22, 2
	v_add_co_ci_u32_e32 v23, vcc_lo, 0, v23, vcc_lo
.LBB4_253:                              ;   in Loop: Header=BB4_229 Depth=2
	s_or_b32 exec_lo, exec_lo, s3
	s_and_saveexec_b32 s13, s38
	s_cbranch_execz .LBB4_277
; %bb.254:                              ;   in Loop: Header=BB4_229 Depth=2
	s_and_saveexec_b32 s3, s4
	s_delay_alu instid0(SALU_CYCLE_1)
	s_xor_b32 s3, exec_lo, s3
	s_cbranch_execz .LBB4_274
; %bb.255:                              ;   in Loop: Header=BB4_229 Depth=2
	s_and_saveexec_b32 s16, s1
	s_cbranch_execz .LBB4_273
; %bb.256:                              ;   in Loop: Header=BB4_229 Depth=2
	s_mov_b32 s17, exec_lo
	s_mov_b32 s19, exec_lo
	v_mbcnt_lo_u32_b32 v2, s17, 0
	s_waitcnt lgkmcnt(0)
	s_waitcnt_vscnt null, 0x0
	buffer_gl1_inv
	buffer_gl0_inv
	v_cmpx_eq_u32_e32 0, v2
	s_cbranch_execz .LBB4_258
; %bb.257:                              ;   in Loop: Header=BB4_229 Depth=2
	s_bcnt1_i32_b32 s17, s17
	s_delay_alu instid0(SALU_CYCLE_1)
	v_mov_b32_e32 v2, s17
	ds_add_u64 v0, v[2:3]
	s_cbranch_execnz .LBB4_1553
.LBB4_258:                              ;   in Loop: Header=BB4_229 Depth=2
	s_or_b32 exec_lo, exec_lo, s19
	s_cbranch_execnz .LBB4_1535
; %bb.259:                              ;   in Loop: Header=BB4_229 Depth=2
	ds_load_b64 v[50:51], v0
	v_add_co_u32 v12, vcc_lo, v12, v86
	v_add_co_ci_u32_e32 v13, vcc_lo, 0, v13, vcc_lo
	s_mov_b32 s17, s37
	s_mov_b32 s19, exec_lo
	s_waitcnt lgkmcnt(0)
	s_delay_alu instid0(VALU_DEP_1)
	v_cmpx_lt_u64_e64 v[50:51], v[12:13]
	s_cbranch_execz .LBB4_272
; %bb.260:                              ;   in Loop: Header=BB4_229 Depth=2
	s_mov_b32 s21, 0
	s_mov_b32 s41, 0
                                        ; implicit-def: $sgpr37
                                        ; implicit-def: $sgpr40
	s_branch .LBB4_264
.LBB4_261:                              ;   in Loop: Header=BB4_229 Depth=2
	s_and_not1_saveexec_b32 s13, s13
	s_cbranch_execz .LBB4_248
.LBB4_262:                              ;   in Loop: Header=BB4_229 Depth=2
	s_or_b32 s16, s16, exec_lo
                                        ; implicit-def: $vgpr52_vgpr53
	s_or_b32 exec_lo, exec_lo, s13
	s_and_saveexec_b32 s13, s16
	s_cbranch_execnz .LBB4_249
	s_branch .LBB4_250
.LBB4_263:                              ;   in Loop: Header=BB4_264 Depth=3
	s_or_b32 exec_lo, exec_lo, s43
	s_delay_alu instid0(SALU_CYCLE_1) | instskip(NEXT) | instid1(SALU_CYCLE_1)
	s_and_b32 vcc_lo, exec_lo, vcc_lo
	s_or_b32 s21, vcc_lo, s21
	s_and_not1_b32 vcc_lo, s37, exec_lo
	s_and_b32 s37, s40, exec_lo
	s_delay_alu instid0(SALU_CYCLE_1)
	s_or_b32 s37, vcc_lo, s37
	s_and_not1_b32 exec_lo, exec_lo, s21
	s_cbranch_execz .LBB4_270
.LBB4_264:                              ;   Parent Loop BB4_55 Depth=1
                                        ;     Parent Loop BB4_229 Depth=2
                                        ; =>    This Inner Loop Header: Depth=3
	s_add_i32 s41, s41, 1
                                        ; implicit-def: $sgpr43
	s_delay_alu instid0(SALU_CYCLE_1) | instskip(SKIP_1) | instid1(SALU_CYCLE_1)
	s_cmpk_lg_i32 s41, 0x2710
	s_cselect_b32 s42, -1, 0
	s_and_b32 vcc_lo, exec_lo, s42
	s_cbranch_vccz .LBB4_268
.LBB4_265:                              ;   in Loop: Header=BB4_264 Depth=3
	s_and_not1_b32 s40, s40, exec_lo
	s_and_b32 s43, s43, exec_lo
	s_mov_b32 vcc_lo, -1
	s_or_b32 s40, s40, s43
	s_and_saveexec_b32 s43, s42
	s_cbranch_execz .LBB4_263
; %bb.266:                              ;   in Loop: Header=BB4_264 Depth=3
	s_sleep 1
	s_cbranch_execnz .LBB4_1583
; %bb.267:                              ;   in Loop: Header=BB4_264 Depth=3
	ds_load_b64 v[50:51], v0
	s_and_not1_b32 s40, s40, exec_lo
	s_waitcnt lgkmcnt(0)
	v_cmp_ge_u64_e32 vcc_lo, v[50:51], v[12:13]
	s_or_not1_b32 vcc_lo, vcc_lo, exec_lo
	s_branch .LBB4_263
.LBB4_268:                              ;   in Loop: Header=BB4_264 Depth=3
	s_cbranch_execnz .LBB4_1589
; %bb.269:                              ;   in Loop: Header=BB4_264 Depth=3
	ds_load_b64 v[50:51], v0
	s_and_not1_b32 s42, s42, exec_lo
	s_mov_b32 s41, 0
	s_mov_b32 s43, -1
	s_waitcnt lgkmcnt(0)
	flat_load_b32 v2, v[50:51] glc
	s_waitcnt vmcnt(0) lgkmcnt(0)
	buffer_gl1_inv
	buffer_gl0_inv
	v_cmp_eq_u32_e32 vcc_lo, 0, v2
	s_and_b32 vcc_lo, vcc_lo, exec_lo
	s_delay_alu instid0(SALU_CYCLE_1)
	s_or_b32 s42, s42, vcc_lo
	s_branch .LBB4_265
.LBB4_270:                              ;   in Loop: Header=BB4_229 Depth=2
	s_or_b32 exec_lo, exec_lo, s21
	s_and_saveexec_b32 s21, s37
	s_delay_alu instid0(SALU_CYCLE_1)
	s_xor_b32 s21, exec_lo, s21
	s_cbranch_execz .LBB4_272
; %bb.271:                              ;   in Loop: Header=BB4_229 Depth=2
	ds_store_b32 v0, v131
	s_cbranch_execnz .LBB4_1801
.LBB4_272:                              ;   in Loop: Header=BB4_229 Depth=2
	s_or_b32 exec_lo, exec_lo, s19
	s_mov_b32 s37, s17
	;;#ASMSTART
	s_wakeup
	;;#ASMEND
.LBB4_273:                              ;   in Loop: Header=BB4_229 Depth=2
	s_or_b32 exec_lo, exec_lo, s16
.LBB4_274:                              ;   in Loop: Header=BB4_229 Depth=2
	s_and_not1_saveexec_b32 s3, s3
	s_cbranch_execz .LBB4_276
; %bb.275:                              ;   in Loop: Header=BB4_229 Depth=2
	s_waitcnt lgkmcnt(0)
	s_waitcnt_vscnt null, 0x0
	buffer_gl1_inv
	buffer_gl0_inv
	s_barrier
.LBB4_276:                              ;   in Loop: Header=BB4_229 Depth=2
	s_or_b32 exec_lo, exec_lo, s3
.LBB4_277:                              ;   in Loop: Header=BB4_229 Depth=2
	s_delay_alu instid0(SALU_CYCLE_1) | instskip(SKIP_1) | instid1(SALU_CYCLE_1)
	s_or_b32 exec_lo, exec_lo, s13
                                        ; implicit-def: $vgpr2
	s_and_saveexec_b32 s3, s7
	s_xor_b32 s3, exec_lo, s3
	s_cbranch_execz .LBB4_282
; %bb.278:                              ;   in Loop: Header=BB4_229 Depth=2
	s_cbranch_execnz .LBB4_1508
; %bb.279:                              ;   in Loop: Header=BB4_229 Depth=2
	ds_load_b32 v2, v0
	v_cmp_lt_i32_e32 vcc_lo, 0, v8
	s_waitcnt lgkmcnt(0)
	v_readfirstlane_b32 s13, v2
	v_and_b32_e32 v2, 16, v30
	s_delay_alu instid0(VALU_DEP_2) | instskip(NEXT) | instid1(VALU_DEP_1)
	s_cmp_eq_u32 s13, 0
	v_cmp_ne_u32_e64 s13, 0, v2
	s_cselect_b32 s16, -1, 0
	v_and_b32_e32 v2, 16, v30
	s_and_b32 s16, vcc_lo, s16
	s_delay_alu instid0(VALU_DEP_2) | instid1(SALU_CYCLE_1)
	s_and_b32 s16, s13, s16
	s_delay_alu instid0(SALU_CYCLE_1)
	s_and_saveexec_b32 s13, s16
	s_cbranch_execz .LBB4_281
; %bb.280:                              ;   in Loop: Header=BB4_229 Depth=2
	v_mov_b32_e32 v2, 1
	s_waitcnt_vscnt null, 0x0
	buffer_gl1_inv
	buffer_gl0_inv
.LBB4_281:                              ;   in Loop: Header=BB4_229 Depth=2
	s_or_b32 exec_lo, exec_lo, s13
.LBB4_282:                              ;   in Loop: Header=BB4_229 Depth=2
	s_and_not1_saveexec_b32 s13, s3
	s_cbranch_execz .LBB4_304
; %bb.283:                              ;   in Loop: Header=BB4_229 Depth=2
	s_and_saveexec_b32 s3, s4
	s_delay_alu instid0(SALU_CYCLE_1)
	s_xor_b32 s3, exec_lo, s3
	s_cbranch_execz .LBB4_301
; %bb.284:                              ;   in Loop: Header=BB4_229 Depth=2
	s_and_saveexec_b32 s16, s1
	s_cbranch_execz .LBB4_300
; %bb.285:                              ;   in Loop: Header=BB4_229 Depth=2
	s_mov_b32 s21, exec_lo
	s_mov_b32 s17, s37
	v_mbcnt_lo_u32_b32 v2, s21, 0
	s_mov_b32 s19, exec_lo
	;;#ASMSTART
	s_waitcnt lgkmcnt(0) vmcnt(0)
	;;#ASMEND
	s_delay_alu instid0(VALU_DEP_1)
	v_cmpx_eq_u32_e32 0, v2
	s_cbranch_execz .LBB4_287
; %bb.286:                              ;   in Loop: Header=BB4_229 Depth=2
	s_bcnt1_i32_b32 s21, s21
	s_delay_alu instid0(SALU_CYCLE_1)
	v_mov_b32_e32 v2, s21
	ds_add_u64 v0, v[2:3]
	s_cbranch_execnz .LBB4_1571
.LBB4_287:                              ;   in Loop: Header=BB4_229 Depth=2
	s_or_b32 exec_lo, exec_lo, s19
	s_cbranch_execnz .LBB4_1551
; %bb.288:                              ;   in Loop: Header=BB4_229 Depth=2
	ds_load_b64 v[50:51], v0
	v_add_co_u32 v12, vcc_lo, v12, v86
	v_add_co_ci_u32_e32 v13, vcc_lo, 0, v13, vcc_lo
	s_mov_b32 s19, exec_lo
	s_waitcnt lgkmcnt(0)
	s_delay_alu instid0(VALU_DEP_1)
	v_cmpx_lt_u64_e64 v[50:51], v[12:13]
	s_cbranch_execz .LBB4_299
; %bb.289:                              ;   in Loop: Header=BB4_229 Depth=2
	s_mov_b32 s21, 0
	s_mov_b32 s41, 0
                                        ; implicit-def: $sgpr37
                                        ; implicit-def: $sgpr40
	s_branch .LBB4_291
.LBB4_290:                              ;   in Loop: Header=BB4_291 Depth=3
	s_or_b32 exec_lo, exec_lo, s43
	s_delay_alu instid0(SALU_CYCLE_1) | instskip(NEXT) | instid1(SALU_CYCLE_1)
	s_and_b32 vcc_lo, exec_lo, vcc_lo
	s_or_b32 s21, vcc_lo, s21
	s_and_not1_b32 vcc_lo, s37, exec_lo
	s_and_b32 s37, s40, exec_lo
	s_delay_alu instid0(SALU_CYCLE_1)
	s_or_b32 s37, vcc_lo, s37
	s_and_not1_b32 exec_lo, exec_lo, s21
	s_cbranch_execz .LBB4_297
.LBB4_291:                              ;   Parent Loop BB4_55 Depth=1
                                        ;     Parent Loop BB4_229 Depth=2
                                        ; =>    This Inner Loop Header: Depth=3
	s_add_i32 s41, s41, 1
                                        ; implicit-def: $sgpr43
	s_delay_alu instid0(SALU_CYCLE_1) | instskip(SKIP_1) | instid1(SALU_CYCLE_1)
	s_cmpk_lg_i32 s41, 0x2710
	s_cselect_b32 s42, -1, 0
	s_and_b32 vcc_lo, exec_lo, s42
	s_cbranch_vccz .LBB4_295
.LBB4_292:                              ;   in Loop: Header=BB4_291 Depth=3
	s_and_not1_b32 s40, s40, exec_lo
	s_and_b32 s43, s43, exec_lo
	s_mov_b32 vcc_lo, -1
	s_or_b32 s40, s40, s43
	s_and_saveexec_b32 s43, s42
	s_cbranch_execz .LBB4_290
; %bb.293:                              ;   in Loop: Header=BB4_291 Depth=3
	s_sleep 1
	s_cbranch_execnz .LBB4_1595
; %bb.294:                              ;   in Loop: Header=BB4_291 Depth=3
	ds_load_b64 v[50:51], v0
	s_and_not1_b32 s40, s40, exec_lo
	s_waitcnt lgkmcnt(0)
	v_cmp_ge_u64_e32 vcc_lo, v[50:51], v[12:13]
	s_or_not1_b32 vcc_lo, vcc_lo, exec_lo
	s_branch .LBB4_290
.LBB4_295:                              ;   in Loop: Header=BB4_291 Depth=3
	s_cbranch_execnz .LBB4_1607
; %bb.296:                              ;   in Loop: Header=BB4_291 Depth=3
	ds_load_b64 v[50:51], v0
	s_and_not1_b32 s42, s42, exec_lo
	s_mov_b32 s41, 0
	s_mov_b32 s43, -1
	s_waitcnt lgkmcnt(0)
	s_waitcnt_vscnt null, 0x0
	flat_load_b32 v2, v[50:51] glc
	s_waitcnt vmcnt(0) lgkmcnt(0)
	buffer_gl1_inv
	buffer_gl0_inv
	v_cmp_eq_u32_e32 vcc_lo, 0, v2
	s_and_b32 vcc_lo, vcc_lo, exec_lo
	s_delay_alu instid0(SALU_CYCLE_1)
	s_or_b32 s42, s42, vcc_lo
	s_branch .LBB4_292
.LBB4_297:                              ;   in Loop: Header=BB4_229 Depth=2
	s_or_b32 exec_lo, exec_lo, s21
	s_and_saveexec_b32 s21, s37
	s_delay_alu instid0(SALU_CYCLE_1)
	s_xor_b32 s21, exec_lo, s21
	s_cbranch_execz .LBB4_299
; %bb.298:                              ;   in Loop: Header=BB4_229 Depth=2
	ds_store_b32 v0, v131
	s_cbranch_execnz .LBB4_1821
.LBB4_299:                              ;   in Loop: Header=BB4_229 Depth=2
	s_or_b32 exec_lo, exec_lo, s19
	s_mov_b32 s37, s17
	;;#ASMSTART
	s_wakeup
	;;#ASMEND
.LBB4_300:                              ;   in Loop: Header=BB4_229 Depth=2
	s_or_b32 exec_lo, exec_lo, s16
.LBB4_301:                              ;   in Loop: Header=BB4_229 Depth=2
	s_and_not1_saveexec_b32 s3, s3
	s_cbranch_execz .LBB4_303
; %bb.302:                              ;   in Loop: Header=BB4_229 Depth=2
	;;#ASMSTART
	s_waitcnt lgkmcnt(0) vmcnt(0)
	;;#ASMEND
	s_waitcnt lgkmcnt(0)
	s_waitcnt_vscnt null, 0x0
	s_barrier
.LBB4_303:                              ;   in Loop: Header=BB4_229 Depth=2
	s_or_b32 exec_lo, exec_lo, s3
	v_and_b32_e32 v2, 16, v30
.LBB4_304:                              ;   in Loop: Header=BB4_229 Depth=2
	s_or_b32 exec_lo, exec_lo, s13
	s_delay_alu instid0(SALU_CYCLE_1) | instskip(NEXT) | instid1(VALU_DEP_1)
	s_mov_b32 s3, exec_lo
	v_cmpx_ne_u32_e32 0, v2
	s_cbranch_execz .LBB4_308
; %bb.305:                              ;   in Loop: Header=BB4_229 Depth=2
	s_and_saveexec_b32 s13, s11
	s_cbranch_execz .LBB4_307
; %bb.306:                              ;   in Loop: Header=BB4_229 Depth=2
	s_waitcnt lgkmcnt(0)
	s_waitcnt_vscnt null, 0x0
	flat_store_b32 v[26:27], v131
.LBB4_307:                              ;   in Loop: Header=BB4_229 Depth=2
	s_or_b32 exec_lo, exec_lo, s13
	v_add_co_u32 v22, vcc_lo, v22, 2
	v_add_co_ci_u32_e32 v23, vcc_lo, 0, v23, vcc_lo
	s_waitcnt lgkmcnt(0)
	s_waitcnt_vscnt null, 0x0
	flat_store_b64 v[20:21], v[22:23]
.LBB4_308:                              ;   in Loop: Header=BB4_229 Depth=2
	s_or_b32 exec_lo, exec_lo, s3
	v_add_nc_u32_e32 v10, v8, v10
	s_mov_b32 s13, 0
	s_and_not1_b32 exec_lo, exec_lo, s15
	s_cbranch_execnz .LBB4_229
; %bb.309:                              ;   in Loop: Header=BB4_55 Depth=1
	s_or_b32 exec_lo, exec_lo, s15
.LBB4_310:                              ;   in Loop: Header=BB4_55 Depth=1
	s_delay_alu instid0(SALU_CYCLE_1) | instskip(NEXT) | instid1(SALU_CYCLE_1)
	s_or_b32 exec_lo, exec_lo, s12
	s_and_not1_b32 vcc_lo, exec_lo, s34
	s_cbranch_vccnz .LBB4_566
; %bb.311:                              ;   in Loop: Header=BB4_55 Depth=1
	s_mov_b32 s15, 2
.LBB4_312:                              ;   Parent Loop BB4_55 Depth=1
                                        ; =>  This Loop Header: Depth=2
                                        ;       Child Loop BB4_314 Depth 3
                                        ;         Child Loop BB4_323 Depth 4
                                        ;         Child Loop BB4_355 Depth 4
	;; [unrolled: 1-line block ×9, first 2 shown]
                                        ;       Child Loop BB4_483 Depth 3
                                        ;         Child Loop BB4_489 Depth 4
                                        ;         Child Loop BB4_519 Depth 4
	;; [unrolled: 1-line block ×3, first 2 shown]
	s_delay_alu instid0(SALU_CYCLE_1) | instskip(SKIP_4) | instid1(SALU_CYCLE_1)
	s_sub_i32 s3, vcc_hi, s15
	v_mov_b32_e32 v10, 0
	s_cmp_le_i32 s25, s3
	s_mov_b32 s17, 0
	s_cselect_b32 s12, s25, 0
	s_sub_i32 s3, s3, s12
	s_delay_alu instid0(SALU_CYCLE_1) | instskip(SKIP_3) | instid1(VALU_DEP_1)
	s_ashr_i32 s12, s3, 31
	v_mul_lo_u32 v2, v37, s3
	v_mad_u64_u32 v[50:51], null, v36, s3, 0
	v_mul_lo_u32 v8, v36, s12
	v_add3_u32 v51, v51, v8, v2
	s_delay_alu instid0(VALU_DEP_3) | instskip(NEXT) | instid1(VALU_DEP_2)
	v_sub_co_u32 v8, vcc_lo, v38, v50
	v_sub_co_ci_u32_e32 v9, vcc_lo, v39, v51, vcc_lo
	s_delay_alu instid0(VALU_DEP_1) | instskip(SKIP_1) | instid1(VALU_DEP_1)
	v_cmp_lt_i64_e32 vcc_lo, v[36:37], v[8:9]
	v_cndmask_b32_e32 v8, v8, v36, vcc_lo
	v_max_i32_e32 v66, 0, v8
	s_delay_alu instid0(VALU_DEP_1) | instskip(NEXT) | instid1(VALU_DEP_1)
	v_add_nc_u32_e32 v2, 31, v66
	v_lshrrev_b32_e32 v2, 1, v2
	s_delay_alu instid0(VALU_DEP_1) | instskip(SKIP_2) | instid1(VALU_DEP_3)
	v_and_b32_e32 v9, 0x3ffffff0, v2
	v_cmp_lt_i32_e32 vcc_lo, 0, v8
	v_mov_b32_e32 v2, 0
	v_max_i32_e32 v8, s31, v9
	s_and_b32 s3, s22, vcc_lo
	s_delay_alu instid0(SALU_CYCLE_1)
	s_and_saveexec_b32 s16, s3
	s_cbranch_execz .LBB4_481
; %bb.313:                              ;   in Loop: Header=BB4_312 Depth=2
	v_lshlrev_b64 v[50:51], 3, v[50:51]
	v_mov_b32_e32 v10, 0
	s_mov_b32 s19, 1
	s_mov_b32 s13, -1
.LBB4_314:                              ;   Parent Loop BB4_55 Depth=1
                                        ;     Parent Loop BB4_312 Depth=2
                                        ; =>    This Loop Header: Depth=3
                                        ;         Child Loop BB4_323 Depth 4
                                        ;         Child Loop BB4_355 Depth 4
	;; [unrolled: 1-line block ×9, first 2 shown]
	s_and_saveexec_b32 s3, s0
	s_cbranch_execz .LBB4_317
; %bb.315:                              ;   in Loop: Header=BB4_314 Depth=3
	s_cbranch_execnz .LBB4_1518
; %bb.316:                              ;   in Loop: Header=BB4_314 Depth=3
	ds_load_b64 v[52:53], v0
	v_lshlrev_b64 v[54:55], 3, v[48:49]
	v_ashrrev_i32_e32 v11, 31, v10
	s_waitcnt lgkmcnt(0)
	s_delay_alu instid0(VALU_DEP_2) | instskip(NEXT) | instid1(VALU_DEP_3)
	v_add_co_u32 v2, vcc_lo, v52, v54
	v_add_co_ci_u32_e32 v9, vcc_lo, v53, v55, vcc_lo
	s_delay_alu instid0(VALU_DEP_3) | instskip(NEXT) | instid1(VALU_DEP_3)
	v_lshlrev_b64 v[52:53], 3, v[10:11]
	v_add_co_u32 v2, vcc_lo, v2, v50
	s_delay_alu instid0(VALU_DEP_3) | instskip(NEXT) | instid1(VALU_DEP_2)
	v_add_co_ci_u32_e32 v9, vcc_lo, v9, v51, vcc_lo
	v_add_co_u32 v52, vcc_lo, v2, v52
	s_delay_alu instid0(VALU_DEP_2)
	v_add_co_ci_u32_e32 v53, vcc_lo, v9, v53, vcc_lo
	v_mov_b32_e32 v2, v3
	ds_store_b64 v0, v[52:53]
	ds_store_b64 v0, v[2:3]
.LBB4_317:                              ;   in Loop: Header=BB4_314 Depth=3
	s_or_b32 exec_lo, exec_lo, s3
	v_and_b32_e32 v2, 12, v30
	s_mov_b32 s21, -1
	s_mov_b32 s3, exec_lo
	s_delay_alu instid0(VALU_DEP_1)
	v_cmpx_ne_u32_e32 0, v2
	v_writelane_b32 v42, s13, 18
	v_writelane_b32 v42, s19, 19
	s_cbranch_execz .LBB4_331
; %bb.318:                              ;   in Loop: Header=BB4_314 Depth=3
	v_dual_mov_b32 v9, 1 :: v_dual_and_b32 v2, 8, v30
	s_mov_b32 s12, s37
	s_mov_b32 s13, s14
	s_mov_b32 s14, exec_lo
	s_delay_alu instid0(VALU_DEP_1) | instskip(SKIP_3) | instid1(VALU_DEP_1)
	v_add_co_u32 v54, vcc_lo, v28, v2
	v_add_co_ci_u32_e32 v55, vcc_lo, 0, v29, vcc_lo
	v_add_co_u32 v52, vcc_lo, v22, 2
	v_add_co_ci_u32_e32 v53, vcc_lo, 0, v23, vcc_lo
	v_cmpx_lt_u64_e64 v[54:55], v[52:53]
	s_cbranch_execz .LBB4_330
; %bb.319:                              ;   in Loop: Header=BB4_314 Depth=3
	v_mov_b32_e32 v9, 0
	s_mov_b32 s19, 0
                                        ; implicit-def: $sgpr21
	s_branch .LBB4_323
.LBB4_320:                              ;   in Loop: Header=BB4_323 Depth=4
	s_or_b32 exec_lo, exec_lo, s42
	v_mov_b32_e32 v11, 0
	s_or_not1_b32 s41, s41, exec_lo
.LBB4_321:                              ;   in Loop: Header=BB4_323 Depth=4
	s_or_b32 exec_lo, exec_lo, s40
	s_delay_alu instid0(VALU_DEP_1) | instskip(SKIP_2) | instid1(SALU_CYCLE_1)
	v_mov_b32_e32 v9, v11
	s_and_not1_b32 s21, s21, exec_lo
	s_and_b32 vcc_lo, s41, exec_lo
	s_or_b32 s21, s21, vcc_lo
.LBB4_322:                              ;   in Loop: Header=BB4_323 Depth=4
	s_or_b32 exec_lo, exec_lo, s37
	s_waitcnt vmcnt(0) lgkmcnt(0)
	v_add_co_u32 v54, vcc_lo, v28, v2
	v_add_co_ci_u32_e32 v55, vcc_lo, 0, v29, vcc_lo
	s_xor_b32 s37, s21, -1
	s_delay_alu instid0(VALU_DEP_1) | instskip(SKIP_1) | instid1(SALU_CYCLE_1)
	v_cmp_ge_u64_e32 vcc_lo, v[54:55], v[52:53]
	s_or_b32 vcc_lo, s37, vcc_lo
	s_and_b32 vcc_lo, exec_lo, vcc_lo
	s_delay_alu instid0(SALU_CYCLE_1) | instskip(NEXT) | instid1(SALU_CYCLE_1)
	s_or_b32 s19, vcc_lo, s19
	s_and_not1_b32 exec_lo, exec_lo, s19
	s_cbranch_execz .LBB4_329
.LBB4_323:                              ;   Parent Loop BB4_55 Depth=1
                                        ;     Parent Loop BB4_312 Depth=2
                                        ;       Parent Loop BB4_314 Depth=3
                                        ; =>      This Inner Loop Header: Depth=4
	s_sleep 1
	flat_load_b64 v[28:29], v[20:21] glc
	v_and_b32_e32 v11, 64, v30
	s_and_not1_b32 s21, s21, exec_lo
	s_mov_b32 s37, exec_lo
	s_delay_alu instid0(VALU_DEP_1)
	v_cmpx_eq_u32_e32 0, v11
	s_cbranch_execz .LBB4_322
; %bb.324:                              ;   in Loop: Header=BB4_323 Depth=4
	v_add_nc_u32_e32 v11, 1, v9
	s_mov_b32 s41, -1
	s_mov_b32 s40, exec_lo
	v_cmpx_lt_i32_e32 0x270e, v9
	s_cbranch_execz .LBB4_321
; %bb.325:                              ;   in Loop: Header=BB4_323 Depth=4
	s_cbranch_execnz .LBB4_1549
; %bb.326:                              ;   in Loop: Header=BB4_323 Depth=4
	ds_load_b64 v[54:55], v0
	s_mov_b32 s42, exec_lo
	s_waitcnt vmcnt(0) lgkmcnt(0)
	s_waitcnt_vscnt null, 0x0
	flat_load_b32 v9, v[54:55] glc
	s_waitcnt vmcnt(0) lgkmcnt(0)
	buffer_gl1_inv
	buffer_gl0_inv
	v_cmpx_ne_u32_e32 0, v9
	s_cbranch_execz .LBB4_320
; %bb.327:                              ;   in Loop: Header=BB4_323 Depth=4
	ds_store_b32 v0, v9
	s_cbranch_execnz .LBB4_1599
; %bb.328:                              ;   in Loop: Header=BB4_323 Depth=4
	v_or_b32_e32 v30, 64, v30
	s_xor_b32 s41, exec_lo, -1
	s_branch .LBB4_320
.LBB4_329:                              ;   in Loop: Header=BB4_314 Depth=3
	s_or_b32 exec_lo, exec_lo, s19
	v_and_b32_e32 v9, 12, v30
.LBB4_330:                              ;   in Loop: Header=BB4_314 Depth=3
	s_or_b32 exec_lo, exec_lo, s14
	s_delay_alu instid0(VALU_DEP_1)
	v_cmp_eq_u32_e32 vcc_lo, 0, v9
	s_mov_b32 s14, s13
	s_mov_b32 s37, s12
	;;#ASMSTART
	s_wakeup
	;;#ASMEND
	s_or_not1_b32 s21, vcc_lo, exec_lo
.LBB4_331:                              ;   in Loop: Header=BB4_314 Depth=3
	s_or_b32 exec_lo, exec_lo, s3
	v_sub_nc_u32_e32 v2, v66, v10
	s_xor_b32 s12, s21, -1
	s_delay_alu instid0(VALU_DEP_1)
	v_min_i32_e32 v8, v8, v2
	s_and_saveexec_b32 s3, s12
	s_cbranch_execz .LBB4_346
; %bb.332:                              ;   in Loop: Header=BB4_314 Depth=3
	v_and_b32_e32 v2, 0x108, v30
	s_mov_b32 s12, s37
	s_mov_b32 s13, exec_lo
	s_delay_alu instid0(VALU_DEP_1)
	v_cmpx_ne_u32_e32 0x108, v2
	s_xor_b32 s13, exec_lo, s13
                                        ; implicit-def: $vgpr52_vgpr53
; %bb.333:                              ;   in Loop: Header=BB4_314 Depth=3
	v_and_b32_e32 v52, 7, v22
; %bb.334:                              ;   in Loop: Header=BB4_314 Depth=3
	s_and_not1_saveexec_b32 s13, s13
	s_cbranch_execz .LBB4_336
; %bb.335:                              ;   in Loop: Header=BB4_314 Depth=3
	v_and_b32_e32 v52, 7, v22
	v_ashrrev_i32_e32 v9, 31, v8
	s_delay_alu instid0(VALU_DEP_2) | instskip(NEXT) | instid1(VALU_DEP_2)
	v_mad_u64_u32 v[53:54], null, v52, 24, v[6:7]
	v_lshlrev_b64 v[64:65], 3, v[8:9]
	flat_store_b64 v[53:54], v[64:65] offset:8
.LBB4_336:                              ;   in Loop: Header=BB4_314 Depth=3
	s_or_b32 exec_lo, exec_lo, s13
	v_and_b32_e32 v2, 0x100, v30
	s_mov_b32 s13, -1
	s_mov_b32 s19, exec_lo
                                        ; implicit-def: $vgpr53_vgpr54
	s_delay_alu instid0(VALU_DEP_1)
	v_cmpx_ne_u32_e32 0, v2
	s_cbranch_execz .LBB4_341
; %bb.337:                              ;   in Loop: Header=BB4_314 Depth=3
	v_mad_u64_u32 v[64:65], null, v52, 24, v[6:7]
	s_mov_b32 s21, exec_lo
	s_delay_alu instid0(VALU_DEP_1) | instskip(NEXT) | instid1(VALU_DEP_1)
	v_mov_b32_e32 v2, v65
	v_mad_u64_u32 v[53:54], null, v3, 24, v[2:3]
	s_delay_alu instid0(VALU_DEP_1)
	v_mov_b32_e32 v65, v53
                                        ; implicit-def: $vgpr53_vgpr54
	flat_load_b32 v2, v[64:65]
	s_waitcnt vmcnt(0) lgkmcnt(0)
	v_cmp_ne_u32_e32 vcc_lo, 1, v2
	v_cmpx_eq_u32_e32 1, v2
	s_cbranch_execz .LBB4_339
; %bb.338:                              ;   in Loop: Header=BB4_314 Depth=3
	flat_load_b32 v53, v[64:65] offset:4 glc
	s_waitcnt vmcnt(0) lgkmcnt(0)
	v_ashrrev_i32_e32 v54, 31, v53
	s_delay_alu instid0(VALU_DEP_1)
	v_lshrrev_b64 v[53:54], 3, v[53:54]
.LBB4_339:                              ;   in Loop: Header=BB4_314 Depth=3
	s_or_b32 exec_lo, exec_lo, s21
	s_delay_alu instid0(SALU_CYCLE_1)
	s_or_not1_b32 s13, vcc_lo, exec_lo
	s_or_b32 exec_lo, exec_lo, s19
	s_and_saveexec_b32 s19, s13
	s_cbranch_execnz .LBB4_342
.LBB4_340:                              ;   in Loop: Header=BB4_314 Depth=3
	s_or_b32 exec_lo, exec_lo, s19
	s_cbranch_execz .LBB4_343
	s_branch .LBB4_1545
.LBB4_341:                              ;   in Loop: Header=BB4_314 Depth=3
	s_or_b32 exec_lo, exec_lo, s19
	s_and_saveexec_b32 s19, s13
	s_cbranch_execz .LBB4_340
.LBB4_342:                              ;   in Loop: Header=BB4_314 Depth=3
	v_mul_lo_u32 v2, v3, v84
	v_mul_lo_u32 v9, v52, v85
	v_mad_u64_u32 v[53:54], null, v52, v84, 0
	s_delay_alu instid0(VALU_DEP_1)
	v_add3_u32 v54, v54, v9, v2
	s_or_b32 exec_lo, exec_lo, s19
	s_cbranch_execnz .LBB4_1545
.LBB4_343:                              ;   in Loop: Header=BB4_314 Depth=3
	s_delay_alu instid0(VALU_DEP_1) | instskip(SKIP_2) | instid1(VALU_DEP_2)
	v_lshlrev_b64 v[52:53], 3, v[53:54]
	v_and_b32_e32 v2, 0x2000, v30
	s_mov_b32 s13, exec_lo
	v_add_co_u32 v52, vcc_lo, v24, v52
	s_delay_alu instid0(VALU_DEP_3)
	v_add_co_ci_u32_e32 v53, vcc_lo, v25, v53, vcc_lo
	ds_store_b64 v0, v[52:53]
	v_cmpx_ne_u32_e32 0, v2
	s_cbranch_execz .LBB4_345
; %bb.344:                              ;   in Loop: Header=BB4_314 Depth=3
	ds_load_b64 v[52:53], v0 offset:584
	s_waitcnt lgkmcnt(0)
	v_add_co_u32 v52, vcc_lo, v52, 1
	v_add_co_ci_u32_e32 v53, vcc_lo, 0, v53, vcc_lo
	ds_store_b64 v0, v[52:53] offset:584
.LBB4_345:                              ;   in Loop: Header=BB4_314 Depth=3
	s_or_b32 exec_lo, exec_lo, s13
	v_add_co_u32 v22, vcc_lo, v22, 2
	v_add_co_ci_u32_e32 v23, vcc_lo, 0, v23, vcc_lo
	s_mov_b32 s37, s12
.LBB4_346:                              ;   in Loop: Header=BB4_314 Depth=3
	s_or_b32 exec_lo, exec_lo, s3
	s_and_saveexec_b32 s13, s38
	s_cbranch_execz .LBB4_368
; %bb.347:                              ;   in Loop: Header=BB4_314 Depth=3
	s_mov_b32 s12, s37
	s_mov_b32 s3, s4
	s_and_saveexec_b32 s19, s4
	s_delay_alu instid0(SALU_CYCLE_1)
	s_xor_b32 s4, exec_lo, s19
	s_cbranch_execz .LBB4_365
; %bb.348:                              ;   in Loop: Header=BB4_314 Depth=3
	s_and_saveexec_b32 s19, s1
	s_cbranch_execz .LBB4_364
; %bb.349:                              ;   in Loop: Header=BB4_314 Depth=3
	s_mov_b32 s37, exec_lo
	s_mov_b32 s21, exec_lo
	v_mbcnt_lo_u32_b32 v2, s37, 0
	s_waitcnt lgkmcnt(0)
	s_waitcnt_vscnt null, 0x0
	buffer_gl1_inv
	buffer_gl0_inv
	v_cmpx_eq_u32_e32 0, v2
	s_cbranch_execz .LBB4_351
; %bb.350:                              ;   in Loop: Header=BB4_314 Depth=3
	s_bcnt1_i32_b32 vcc_lo, s37
	s_delay_alu instid0(SALU_CYCLE_1)
	v_mov_b32_e32 v2, vcc_lo
	ds_add_u64 v0, v[2:3]
	s_cbranch_execnz .LBB4_1655
.LBB4_351:                              ;   in Loop: Header=BB4_314 Depth=3
	s_or_b32 exec_lo, exec_lo, s21
	s_cbranch_execnz .LBB4_1621
; %bb.352:                              ;   in Loop: Header=BB4_314 Depth=3
	ds_load_b64 v[52:53], v0
	v_add_co_u32 v12, vcc_lo, v12, v86
	v_add_co_ci_u32_e32 v13, vcc_lo, 0, v13, vcc_lo
	s_mov_b32 s21, exec_lo
	s_waitcnt lgkmcnt(0)
	s_delay_alu instid0(VALU_DEP_1)
	v_cmpx_lt_u64_e64 v[52:53], v[12:13]
	s_cbranch_execz .LBB4_363
; %bb.353:                              ;   in Loop: Header=BB4_314 Depth=3
	s_mov_b32 s37, 0
	s_mov_b32 s42, 0
                                        ; implicit-def: $sgpr40
                                        ; implicit-def: $sgpr41
	s_branch .LBB4_355
.LBB4_354:                              ;   in Loop: Header=BB4_355 Depth=4
	s_or_b32 exec_lo, exec_lo, s44
	s_delay_alu instid0(SALU_CYCLE_1) | instskip(NEXT) | instid1(SALU_CYCLE_1)
	s_and_b32 vcc_lo, exec_lo, vcc_lo
	s_or_b32 s37, vcc_lo, s37
	s_and_not1_b32 vcc_lo, s40, exec_lo
	s_and_b32 s40, s41, exec_lo
	s_delay_alu instid0(SALU_CYCLE_1)
	s_or_b32 s40, vcc_lo, s40
	s_and_not1_b32 exec_lo, exec_lo, s37
	s_cbranch_execz .LBB4_361
.LBB4_355:                              ;   Parent Loop BB4_55 Depth=1
                                        ;     Parent Loop BB4_312 Depth=2
                                        ;       Parent Loop BB4_314 Depth=3
                                        ; =>      This Inner Loop Header: Depth=4
	s_add_i32 s42, s42, 1
                                        ; implicit-def: $sgpr44
	s_delay_alu instid0(SALU_CYCLE_1) | instskip(SKIP_1) | instid1(SALU_CYCLE_1)
	s_cmpk_lg_i32 s42, 0x2710
	s_cselect_b32 s43, -1, 0
	s_and_b32 vcc_lo, exec_lo, s43
	s_cbranch_vccz .LBB4_359
.LBB4_356:                              ;   in Loop: Header=BB4_355 Depth=4
	s_and_not1_b32 s41, s41, exec_lo
	s_and_b32 s44, s44, exec_lo
	s_mov_b32 vcc_lo, -1
	s_or_b32 s41, s41, s44
	s_and_saveexec_b32 s44, s43
	s_cbranch_execz .LBB4_354
; %bb.357:                              ;   in Loop: Header=BB4_355 Depth=4
	s_sleep 1
	s_cbranch_execnz .LBB4_1701
; %bb.358:                              ;   in Loop: Header=BB4_355 Depth=4
	ds_load_b64 v[52:53], v0
	s_and_not1_b32 s41, s41, exec_lo
	s_waitcnt lgkmcnt(0)
	v_cmp_ge_u64_e32 vcc_lo, v[52:53], v[12:13]
	s_or_not1_b32 vcc_lo, vcc_lo, exec_lo
	s_branch .LBB4_354
.LBB4_359:                              ;   in Loop: Header=BB4_355 Depth=4
	s_cbranch_execnz .LBB4_1713
; %bb.360:                              ;   in Loop: Header=BB4_355 Depth=4
	ds_load_b64 v[52:53], v0
	s_and_not1_b32 s43, s43, exec_lo
	s_mov_b32 s42, 0
	s_mov_b32 s44, -1
	s_waitcnt lgkmcnt(0)
	flat_load_b32 v2, v[52:53] glc
	s_waitcnt vmcnt(0) lgkmcnt(0)
	buffer_gl1_inv
	buffer_gl0_inv
	v_cmp_eq_u32_e32 vcc_lo, 0, v2
	s_and_b32 vcc_lo, vcc_lo, exec_lo
	s_delay_alu instid0(SALU_CYCLE_1)
	s_or_b32 s43, s43, vcc_lo
	s_branch .LBB4_356
.LBB4_361:                              ;   in Loop: Header=BB4_314 Depth=3
	s_or_b32 exec_lo, exec_lo, s37
	s_and_saveexec_b32 vcc_lo, s40
	s_delay_alu instid0(SALU_CYCLE_1)
	s_xor_b32 vcc_lo, exec_lo, vcc_lo
	s_cbranch_execz .LBB4_363
; %bb.362:                              ;   in Loop: Header=BB4_314 Depth=3
	ds_store_b32 v0, v131
	s_cbranch_execnz .LBB4_1909
.LBB4_363:                              ;   in Loop: Header=BB4_314 Depth=3
	s_or_b32 exec_lo, exec_lo, s21
	;;#ASMSTART
	s_wakeup
	;;#ASMEND
.LBB4_364:                              ;   in Loop: Header=BB4_314 Depth=3
	s_or_b32 exec_lo, exec_lo, s19
.LBB4_365:                              ;   in Loop: Header=BB4_314 Depth=3
	s_and_not1_saveexec_b32 s4, s4
	s_cbranch_execz .LBB4_367
; %bb.366:                              ;   in Loop: Header=BB4_314 Depth=3
	s_waitcnt lgkmcnt(0)
	s_waitcnt_vscnt null, 0x0
	buffer_gl1_inv
	buffer_gl0_inv
	s_barrier
.LBB4_367:                              ;   in Loop: Header=BB4_314 Depth=3
	s_or_b32 exec_lo, exec_lo, s4
	s_mov_b32 s37, s12
	s_mov_b32 s4, s3
.LBB4_368:                              ;   in Loop: Header=BB4_314 Depth=3
	s_mov_b32 s12, s37
	s_mov_b32 s37, s14
	s_or_b32 exec_lo, exec_lo, s13
	s_cbranch_execnz .LBB4_1524
; %bb.369:                              ;   in Loop: Header=BB4_314 Depth=3
	ds_load_b32 v11, v0
	v_and_b32_e32 v2, 0x4000, v30
	s_mov_b32 s21, s2
	s_xor_b32 s2, s2, -1
	s_delay_alu instid0(VALU_DEP_1) | instskip(SKIP_1) | instid1(SALU_CYCLE_1)
	v_cmp_ne_u32_e32 vcc_lo, 0, v2
	s_and_b32 s2, s2, vcc_lo
	s_and_saveexec_b32 s13, s2
	s_cbranch_execz .LBB4_391
; %bb.370:                              ;   in Loop: Header=BB4_314 Depth=3
	s_and_saveexec_b32 s2, s4
	s_delay_alu instid0(SALU_CYCLE_1)
	s_xor_b32 s2, exec_lo, s2
	s_cbranch_execz .LBB4_388
; %bb.371:                              ;   in Loop: Header=BB4_314 Depth=3
	s_and_saveexec_b32 s3, s1
	s_cbranch_execz .LBB4_387
; %bb.372:                              ;   in Loop: Header=BB4_314 Depth=3
	s_mov_b32 s19, exec_lo
	s_mov_b32 s14, exec_lo
	v_mbcnt_lo_u32_b32 v2, s19, 0
	s_waitcnt lgkmcnt(0)
	s_waitcnt_vscnt null, 0x0
	buffer_gl1_inv
	buffer_gl0_inv
	v_cmpx_eq_u32_e32 0, v2
	s_cbranch_execz .LBB4_374
; %bb.373:                              ;   in Loop: Header=BB4_314 Depth=3
	s_bcnt1_i32_b32 s19, s19
	s_delay_alu instid0(SALU_CYCLE_1)
	v_mov_b32_e32 v2, s19
	ds_add_u64 v0, v[2:3]
	s_cbranch_execnz .LBB4_1687
.LBB4_374:                              ;   in Loop: Header=BB4_314 Depth=3
	s_or_b32 exec_lo, exec_lo, s14
	s_cbranch_execnz .LBB4_1677
; %bb.375:                              ;   in Loop: Header=BB4_314 Depth=3
	ds_load_b64 v[52:53], v0
	v_add_co_u32 v12, vcc_lo, v12, v86
	v_add_co_ci_u32_e32 v13, vcc_lo, 0, v13, vcc_lo
	s_mov_b32 s14, exec_lo
	s_waitcnt lgkmcnt(0)
	s_delay_alu instid0(VALU_DEP_1)
	v_cmpx_lt_u64_e64 v[52:53], v[12:13]
	s_cbranch_execz .LBB4_386
; %bb.376:                              ;   in Loop: Header=BB4_314 Depth=3
	s_mov_b32 s19, 0
	s_mov_b32 s42, 0
                                        ; implicit-def: $sgpr40
                                        ; implicit-def: $sgpr41
	s_branch .LBB4_378
.LBB4_377:                              ;   in Loop: Header=BB4_378 Depth=4
	s_or_b32 exec_lo, exec_lo, s44
	s_delay_alu instid0(SALU_CYCLE_1) | instskip(NEXT) | instid1(SALU_CYCLE_1)
	s_and_b32 vcc_lo, exec_lo, vcc_lo
	s_or_b32 s19, vcc_lo, s19
	s_and_not1_b32 vcc_lo, s40, exec_lo
	s_and_b32 s40, s41, exec_lo
	s_delay_alu instid0(SALU_CYCLE_1)
	s_or_b32 s40, vcc_lo, s40
	s_and_not1_b32 exec_lo, exec_lo, s19
	s_cbranch_execz .LBB4_384
.LBB4_378:                              ;   Parent Loop BB4_55 Depth=1
                                        ;     Parent Loop BB4_312 Depth=2
                                        ;       Parent Loop BB4_314 Depth=3
                                        ; =>      This Inner Loop Header: Depth=4
	s_add_i32 s42, s42, 1
                                        ; implicit-def: $sgpr44
	s_delay_alu instid0(SALU_CYCLE_1) | instskip(SKIP_1) | instid1(SALU_CYCLE_1)
	s_cmpk_lg_i32 s42, 0x2710
	s_cselect_b32 s43, -1, 0
	s_and_b32 vcc_lo, exec_lo, s43
	s_cbranch_vccz .LBB4_382
.LBB4_379:                              ;   in Loop: Header=BB4_378 Depth=4
	s_and_not1_b32 s41, s41, exec_lo
	s_and_b32 s44, s44, exec_lo
	s_mov_b32 vcc_lo, -1
	s_or_b32 s41, s41, s44
	s_and_saveexec_b32 s44, s43
	s_cbranch_execz .LBB4_377
; %bb.380:                              ;   in Loop: Header=BB4_378 Depth=4
	s_sleep 1
	s_cbranch_execnz .LBB4_1753
; %bb.381:                              ;   in Loop: Header=BB4_378 Depth=4
	ds_load_b64 v[52:53], v0
	s_and_not1_b32 s41, s41, exec_lo
	s_waitcnt lgkmcnt(0)
	v_cmp_ge_u64_e32 vcc_lo, v[52:53], v[12:13]
	s_or_not1_b32 vcc_lo, vcc_lo, exec_lo
	s_branch .LBB4_377
.LBB4_382:                              ;   in Loop: Header=BB4_378 Depth=4
	s_cbranch_execnz .LBB4_1767
; %bb.383:                              ;   in Loop: Header=BB4_378 Depth=4
	ds_load_b64 v[52:53], v0
	s_and_not1_b32 s43, s43, exec_lo
	s_mov_b32 s42, 0
	s_mov_b32 s44, -1
	s_waitcnt lgkmcnt(0)
	flat_load_b32 v2, v[52:53] glc
	s_waitcnt vmcnt(0) lgkmcnt(0)
	buffer_gl1_inv
	buffer_gl0_inv
	v_cmp_eq_u32_e32 vcc_lo, 0, v2
	s_and_b32 vcc_lo, vcc_lo, exec_lo
	s_delay_alu instid0(SALU_CYCLE_1)
	s_or_b32 s43, s43, vcc_lo
	s_branch .LBB4_379
.LBB4_384:                              ;   in Loop: Header=BB4_314 Depth=3
	s_or_b32 exec_lo, exec_lo, s19
	s_and_saveexec_b32 s19, s40
	s_delay_alu instid0(SALU_CYCLE_1)
	s_xor_b32 s19, exec_lo, s19
	s_cbranch_execz .LBB4_386
; %bb.385:                              ;   in Loop: Header=BB4_314 Depth=3
	ds_store_b32 v0, v131
	s_cbranch_execnz .LBB4_1945
.LBB4_386:                              ;   in Loop: Header=BB4_314 Depth=3
	s_or_b32 exec_lo, exec_lo, s14
	;;#ASMSTART
	s_wakeup
	;;#ASMEND
.LBB4_387:                              ;   in Loop: Header=BB4_314 Depth=3
	s_or_b32 exec_lo, exec_lo, s3
.LBB4_388:                              ;   in Loop: Header=BB4_314 Depth=3
	s_and_not1_saveexec_b32 s2, s2
	s_cbranch_execz .LBB4_390
; %bb.389:                              ;   in Loop: Header=BB4_314 Depth=3
	s_waitcnt lgkmcnt(0)
	s_waitcnt_vscnt null, 0x0
	buffer_gl1_inv
	buffer_gl0_inv
	s_barrier
.LBB4_390:                              ;   in Loop: Header=BB4_314 Depth=3
	s_or_b32 exec_lo, exec_lo, s2
.LBB4_391:                              ;   in Loop: Header=BB4_314 Depth=3
	s_delay_alu instid0(SALU_CYCLE_1)
	s_or_b32 exec_lo, exec_lo, s13
	s_cbranch_execnz .LBB4_1567
; %bb.392:                              ;   in Loop: Header=BB4_314 Depth=3
	ds_load_b64 v[52:53], v0
	v_mov_b32_e32 v9, 0
	s_waitcnt lgkmcnt(0)
	v_cmp_eq_u64_e32 vcc_lo, 0, v[52:53]
	s_or_b32 s2, vcc_lo, vcc_lo
	s_delay_alu instid0(SALU_CYCLE_1)
	s_and_b32 vcc_lo, exec_lo, s2
	s_cbranch_vccnz .LBB4_427
; %bb.393:                              ;   in Loop: Header=BB4_314 Depth=3
	s_mov_b32 s2, -1
	s_mov_b32 s3, exec_lo
	v_readlane_b32 s13, v42, 0
	s_delay_alu instid0(VALU_DEP_1) | instskip(NEXT) | instid1(SALU_CYCLE_1)
	s_and_b32 s13, s3, s13
	s_mov_b32 exec_lo, s13
	s_cbranch_execz .LBB4_395
; %bb.394:                              ;   in Loop: Header=BB4_314 Depth=3
	ds_load_b32 v2, v0 offset:720
	s_waitcnt lgkmcnt(0)
	v_and_b32_e32 v2, 15, v2
	s_delay_alu instid0(VALU_DEP_1)
	v_cmp_eq_u32_e32 vcc_lo, 0, v2
	s_or_not1_b32 s2, vcc_lo, exec_lo
.LBB4_395:                              ;   in Loop: Header=BB4_314 Depth=3
	s_or_b32 exec_lo, exec_lo, s3
	s_and_saveexec_b32 s3, s6
	s_cbranch_execz .LBB4_397
; %bb.396:                              ;   in Loop: Header=BB4_314 Depth=3
	ds_load_b32 v2, v0 offset:784
	s_waitcnt lgkmcnt(0)
	v_and_b32_e32 v2, 15, v2
	s_delay_alu instid0(VALU_DEP_1) | instskip(SKIP_3) | instid1(SALU_CYCLE_1)
	v_cmp_eq_u32_e32 vcc_lo, 0, v2
	s_and_b32 s13, s2, vcc_lo
	s_and_not1_b32 s2, s2, exec_lo
	s_and_b32 s13, s13, exec_lo
	s_or_b32 s2, s2, s13
.LBB4_397:                              ;   in Loop: Header=BB4_314 Depth=3
	s_or_b32 exec_lo, exec_lo, s3
	v_cmp_eq_u32_e32 vcc_lo, 0, v11
	s_xor_b32 s2, s2, -1
	s_mov_b32 s3, -1
	v_cndmask_b32_e64 v2, 0, 1, s2
	;;#ASMSTART
	;;#ASMEND
	v_cndmask_b32_e32 v9, 0, v8, vcc_lo
	s_delay_alu instid0(VALU_DEP_2) | instskip(NEXT) | instid1(VALU_DEP_2)
	v_cmp_ne_u32_e32 vcc_lo, 0, v2
	v_dual_mov_b32 v11, 0 :: v_dual_lshlrev_b32 v2, 3, v9
	s_cbranch_vccz .LBB4_399
; %bb.398:                              ;   in Loop: Header=BB4_314 Depth=3
	v_dual_mov_b32 v67, v96 :: v_dual_mov_b32 v52, v87
	s_branch .LBB4_414
.LBB4_399:                              ;   in Loop: Header=BB4_314 Depth=3
	s_delay_alu instid0(VALU_DEP_1) | instskip(SKIP_1) | instid1(VALU_DEP_1)
	v_ashrrev_i32_e32 v11, 31, v2
	s_mov_b32 s2, exec_lo
	v_lshrrev_b32_e32 v11, 22, v11
	s_delay_alu instid0(VALU_DEP_1) | instskip(NEXT) | instid1(VALU_DEP_1)
	v_add_nc_u32_e32 v11, v2, v11
	v_ashrrev_i32_e32 v11, 10, v11
	s_delay_alu instid0(VALU_DEP_1) | instskip(NEXT) | instid1(VALU_DEP_1)
	v_sub_nc_u32_e32 v69, v11, v87
	v_cmpx_lt_i32_e32 0, v69
	s_cbranch_execz .LBB4_404
; %bb.400:                              ;   in Loop: Header=BB4_314 Depth=3
	s_cbranch_execnz .LBB4_1717
; %bb.401:                              ;   in Loop: Header=BB4_314 Depth=3
	ds_load_b128 v[52:55], v0
	ds_load_b64 v[64:65], v0
	s_mov_b32 s3, 0
	s_waitcnt lgkmcnt(1)
	v_add_co_u32 v52, vcc_lo, v52, v119
	v_add_co_ci_u32_e32 v53, vcc_lo, v53, v128, vcc_lo
	v_add_co_u32 v54, vcc_lo, v54, v119
	v_add_co_ci_u32_e32 v55, vcc_lo, v55, v128, vcc_lo
	s_waitcnt lgkmcnt(0)
	v_add_co_u32 v64, vcc_lo, v64, v119
	v_add_co_ci_u32_e32 v65, vcc_lo, v65, v128, vcc_lo
	s_set_inst_prefetch_distance 0x1
.LBB4_402:                              ;   Parent Loop BB4_55 Depth=1
                                        ;     Parent Loop BB4_312 Depth=2
                                        ;       Parent Loop BB4_314 Depth=3
                                        ; =>      This Inner Loop Header: Depth=4
	global_load_b128 v[80:83], v[54:55], off slc dlc
	s_clause 0x1
	global_load_b128 v[132:135], v[52:53], off slc dlc
	global_load_b128 v[144:147], v[52:53], off offset:512 slc dlc
	global_load_b128 v[148:151], v[54:55], off offset:512 slc dlc
	v_add_co_u32 v52, vcc_lo, v52, v129
	v_sub_nc_u32_e32 v69, v69, v86
	v_add_co_ci_u32_e32 v53, vcc_lo, v53, v130, vcc_lo
	v_add_co_u32 v54, vcc_lo, v54, v129
	v_add_co_ci_u32_e32 v55, vcc_lo, v55, v130, vcc_lo
	s_delay_alu instid0(VALU_DEP_4) | instskip(SKIP_3) | instid1(VALU_DEP_1)
	v_cmp_gt_i32_e32 vcc_lo, 1, v69
	s_or_b32 s3, vcc_lo, s3
	s_waitcnt vmcnt(2)
	v_add_co_u32 v80, s13, v80, v132
	v_add_co_ci_u32_e64 v81, s13, v81, v133, s13
	v_add_co_u32 v82, s13, v82, v134
	s_delay_alu instid0(VALU_DEP_1) | instskip(SKIP_2) | instid1(VALU_DEP_1)
	v_add_co_ci_u32_e64 v83, s13, v83, v135, s13
	s_waitcnt vmcnt(0)
	v_add_co_u32 v132, s13, v148, v144
	v_add_co_ci_u32_e64 v133, s13, v149, v145, s13
	v_add_co_u32 v134, s13, v150, v146
	s_delay_alu instid0(VALU_DEP_1) | instskip(SKIP_4) | instid1(VALU_DEP_1)
	v_add_co_ci_u32_e64 v135, s13, v151, v147, s13
	s_clause 0x1
	global_store_b128 v[64:65], v[80:83], off glc slc dlc
	global_store_b128 v[64:65], v[132:135], off offset:512 glc slc dlc
	v_add_co_u32 v64, s13, v64, v129
	v_add_co_ci_u32_e64 v65, s13, v65, v130, s13
	s_and_not1_b32 exec_lo, exec_lo, s3
	s_cbranch_execnz .LBB4_402
; %bb.403:                              ;   in Loop: Header=BB4_314 Depth=3
	s_set_inst_prefetch_distance 0x2
	s_or_b32 exec_lo, exec_lo, s3
.LBB4_404:                              ;   in Loop: Header=BB4_314 Depth=3
	s_delay_alu instid0(SALU_CYCLE_1) | instskip(SKIP_3) | instid1(VALU_DEP_1)
	s_or_b32 exec_lo, exec_lo, s2
	v_dual_mov_b32 v11, 0 :: v_dual_lshlrev_b32 v68, 10, v11
	s_mov_b32 s3, 0
	s_mov_b32 s2, exec_lo
                                        ; implicit-def: $vgpr67
                                        ; implicit-def: $vgpr52
	v_cmpx_ne_u32_e64 v2, v68
	s_cbranch_execz .LBB4_413
; %bb.405:                              ;   in Loop: Header=BB4_314 Depth=3
	v_lshlrev_b32_e32 v11, 5, v69
	v_sub_nc_u32_e32 v53, v2, v68
	s_mov_b32 s3, exec_lo
	s_delay_alu instid0(VALU_DEP_2) | instskip(NEXT) | instid1(VALU_DEP_2)
	v_sub_nc_u32_e32 v11, v96, v11
	v_ashrrev_i32_e32 v54, 31, v53
	s_delay_alu instid0(VALU_DEP_2) | instskip(NEXT) | instid1(VALU_DEP_2)
	v_ashrrev_i32_e32 v52, 31, v11
	v_lshrrev_b32_e32 v54, 23, v54
	s_delay_alu instid0(VALU_DEP_2) | instskip(NEXT) | instid1(VALU_DEP_2)
	v_lshrrev_b32_e32 v52, 27, v52
	v_add_nc_u32_e32 v54, v53, v54
	s_delay_alu instid0(VALU_DEP_2) | instskip(NEXT) | instid1(VALU_DEP_2)
	v_add_nc_u32_e32 v52, v11, v52
	v_and_b32_e32 v69, 0xfffffe00, v54
	v_ashrrev_i32_e32 v54, 9, v54
	s_delay_alu instid0(VALU_DEP_3) | instskip(NEXT) | instid1(VALU_DEP_3)
	v_and_b32_e32 v55, 0xffffffe0, v52
	v_sub_nc_u32_e32 v80, v53, v69
	s_delay_alu instid0(VALU_DEP_2) | instskip(SKIP_1) | instid1(VALU_DEP_3)
	v_sub_nc_u32_e32 v70, v11, v55
	v_ashrrev_i32_e32 v55, 5, v52
	v_cmp_lt_i32_e32 vcc_lo, 15, v80
	s_delay_alu instid0(VALU_DEP_3) | instskip(SKIP_1) | instid1(VALU_DEP_2)
	v_lshlrev_b32_e32 v11, 4, v70
	v_add_co_ci_u32_e64 v54, s13, 0, v54, vcc_lo
	v_lshl_add_u32 v52, v55, 9, v11
	s_delay_alu instid0(VALU_DEP_2) | instskip(NEXT) | instid1(VALU_DEP_2)
	v_sub_nc_u32_e32 v81, v54, v55
	v_sub_nc_u32_e32 v11, v53, v52
	s_delay_alu instid0(VALU_DEP_1)
	v_cmpx_lt_i32_e32 15, v11
	s_cbranch_execz .LBB4_410
; %bb.406:                              ;   in Loop: Header=BB4_314 Depth=3
	s_cbranch_execnz .LBB4_1783
; %bb.407:                              ;   in Loop: Header=BB4_314 Depth=3
	ds_load_b128 v[132:135], v0
	ds_load_b64 v[64:65], v0
	v_add_nc_u32_e32 v67, v52, v68
	s_mov_b32 s19, 0
	s_delay_alu instid0(VALU_DEP_1) | instskip(SKIP_2) | instid1(VALU_DEP_1)
	v_ashrrev_i32_e32 v82, 31, v67
	s_waitcnt lgkmcnt(1)
	v_add_co_u32 v52, s13, v132, v67
	v_add_co_ci_u32_e64 v53, s13, v133, v82, s13
	v_add_co_u32 v54, s13, v134, v67
	s_delay_alu instid0(VALU_DEP_1) | instskip(SKIP_2) | instid1(VALU_DEP_1)
	v_add_co_ci_u32_e64 v55, s13, v135, v82, s13
	s_waitcnt lgkmcnt(0)
	v_add_co_u32 v64, s13, v64, v67
	v_add_co_ci_u32_e64 v65, s13, v65, v82, s13
	s_set_inst_prefetch_distance 0x1
.LBB4_408:                              ;   Parent Loop BB4_55 Depth=1
                                        ;     Parent Loop BB4_312 Depth=2
                                        ;       Parent Loop BB4_314 Depth=3
                                        ; =>      This Inner Loop Header: Depth=4
	global_load_b128 v[132:135], v[52:53], off slc dlc
	global_load_b128 v[144:147], v[54:55], off slc dlc
	v_add_co_u32 v52, s13, v52, v114
	v_sub_nc_u32_e32 v11, v11, v98
	v_add_co_ci_u32_e64 v53, s13, v53, v115, s13
	v_add_co_u32 v54, s13, v54, v114
	s_delay_alu instid0(VALU_DEP_1) | instskip(NEXT) | instid1(VALU_DEP_4)
	v_add_co_ci_u32_e64 v55, s13, v55, v115, s13
	v_cmp_gt_i32_e64 s13, 16, v11
	v_sub_nc_u32_e32 v81, v81, v86
	s_delay_alu instid0(VALU_DEP_2) | instskip(SKIP_2) | instid1(VALU_DEP_1)
	s_or_b32 s19, s13, s19
	s_waitcnt vmcnt(0)
	v_add_co_u32 v132, s14, v144, v132
	v_add_co_ci_u32_e64 v133, s14, v145, v133, s14
	v_add_co_u32 v134, s14, v146, v134
	s_delay_alu instid0(VALU_DEP_1) | instskip(SKIP_2) | instid1(VALU_DEP_1)
	v_add_co_ci_u32_e64 v135, s14, v147, v135, s14
	global_store_b128 v[64:65], v[132:135], off glc slc dlc
	v_add_co_u32 v64, s14, v64, v114
	v_add_co_ci_u32_e64 v65, s14, v65, v115, s14
	s_and_not1_b32 exec_lo, exec_lo, s19
	s_cbranch_execnz .LBB4_408
; %bb.409:                              ;   in Loop: Header=BB4_314 Depth=3
	s_set_inst_prefetch_distance 0x2
	s_or_b32 exec_lo, exec_lo, s19
.LBB4_410:                              ;   in Loop: Header=BB4_314 Depth=3
	s_delay_alu instid0(SALU_CYCLE_1) | instskip(SKIP_3) | instid1(VALU_DEP_1)
	s_or_b32 exec_lo, exec_lo, s3
	v_and_b32_e32 v53, 8, v2
	s_mov_b32 s3, 0
	s_mov_b32 s14, exec_lo
                                        ; implicit-def: $vgpr67
                                        ; implicit-def: $vgpr52
	v_dual_mov_b32 v11, 0 :: v_dual_cndmask_b32 v2, v80, v53
	s_delay_alu instid0(VALU_DEP_1)
	v_cmpx_ne_u32_e32 0, v2
	s_cbranch_execz .LBB4_412
; %bb.411:                              ;   in Loop: Header=BB4_314 Depth=3
	v_cmp_lt_i32_e64 s13, 0, v81
	v_sub_nc_u32_e32 v52, v80, v53
	s_mov_b32 s3, exec_lo
	s_delay_alu instid0(VALU_DEP_2) | instskip(NEXT) | instid1(VALU_DEP_1)
	v_cndmask_b32_e64 v11, 0, v86, s13
	v_sub_nc_u32_e32 v11, v11, v81
	s_delay_alu instid0(VALU_DEP_1) | instskip(NEXT) | instid1(VALU_DEP_1)
	v_lshl_add_u32 v54, v11, 5, v70
	v_ashrrev_i32_e32 v11, 31, v54
	s_delay_alu instid0(VALU_DEP_1) | instskip(NEXT) | instid1(VALU_DEP_1)
	v_lshrrev_b32_e32 v11, 27, v11
	v_add_nc_u32_e32 v53, v54, v11
	v_cndmask_b32_e32 v11, 0, v52, vcc_lo
	s_delay_alu instid0(VALU_DEP_2) | instskip(NEXT) | instid1(VALU_DEP_2)
	v_and_b32_e32 v55, 0xffffffe0, v53
	v_add3_u32 v11, v69, v68, v11
	v_ashrrev_i32_e32 v52, 5, v53
	s_delay_alu instid0(VALU_DEP_3)
	v_sub_nc_u32_e32 v67, v54, v55
.LBB4_412:                              ;   in Loop: Header=BB4_314 Depth=3
	s_or_b32 exec_lo, exec_lo, s14
	s_delay_alu instid0(SALU_CYCLE_1)
	s_and_b32 s3, s3, exec_lo
.LBB4_413:                              ;   in Loop: Header=BB4_314 Depth=3
	s_or_b32 exec_lo, exec_lo, s2
.LBB4_414:                              ;   in Loop: Header=BB4_314 Depth=3
	s_and_saveexec_b32 s14, s3
	s_cbranch_execz .LBB4_426
; %bb.415:                              ;   in Loop: Header=BB4_314 Depth=3
	v_ashrrev_i32_e32 v53, 31, v2
	s_mov_b32 s2, exec_lo
	s_delay_alu instid0(VALU_DEP_1) | instskip(NEXT) | instid1(VALU_DEP_1)
	v_lshrrev_b32_e32 v53, 23, v53
	v_add_nc_u32_e32 v53, v2, v53
	s_delay_alu instid0(VALU_DEP_1) | instskip(NEXT) | instid1(VALU_DEP_1)
	v_ashrrev_i32_e32 v69, 9, v53
	v_sub_nc_u32_e32 v68, v69, v52
	s_delay_alu instid0(VALU_DEP_1)
	v_cmpx_lt_i32_e32 0, v68
	s_cbranch_execz .LBB4_420
; %bb.416:                              ;   in Loop: Header=BB4_314 Depth=3
	s_cbranch_execnz .LBB4_1707
; %bb.417:                              ;   in Loop: Header=BB4_314 Depth=3
	ds_load_b128 v[80:83], v0
	ds_load_b64 v[64:65], v0
	v_lshlrev_b32_e32 v53, 3, v67
	v_lshlrev_b32_e32 v52, 9, v52
	s_mov_b32 s3, 0
	s_delay_alu instid0(VALU_DEP_1) | instskip(NEXT) | instid1(VALU_DEP_1)
	v_add3_u32 v70, v11, v53, v52
	v_ashrrev_i32_e32 v132, 31, v70
	s_waitcnt lgkmcnt(1)
	v_add_co_u32 v52, vcc_lo, v80, v70
	s_delay_alu instid0(VALU_DEP_2)
	v_add_co_ci_u32_e32 v53, vcc_lo, v81, v132, vcc_lo
	v_add_co_u32 v54, vcc_lo, v82, v70
	v_add_co_ci_u32_e32 v55, vcc_lo, v83, v132, vcc_lo
	s_waitcnt lgkmcnt(0)
	v_add_co_u32 v64, vcc_lo, v64, v70
	v_add_co_ci_u32_e32 v65, vcc_lo, v65, v132, vcc_lo
	s_set_inst_prefetch_distance 0x1
.LBB4_418:                              ;   Parent Loop BB4_55 Depth=1
                                        ;     Parent Loop BB4_312 Depth=2
                                        ;       Parent Loop BB4_314 Depth=3
                                        ; =>      This Inner Loop Header: Depth=4
	flat_load_b64 v[80:81], v[54:55] slc dlc
	s_clause 0x1
	flat_load_b64 v[82:83], v[52:53] slc dlc
	flat_load_b64 v[132:133], v[52:53] offset:256 slc dlc
	flat_load_b64 v[134:135], v[54:55] offset:256 slc dlc
	v_add_co_u32 v52, vcc_lo, v52, v114
	v_sub_nc_u32_e32 v68, v68, v86
	v_add_co_ci_u32_e32 v53, vcc_lo, v53, v115, vcc_lo
	v_add_co_u32 v54, vcc_lo, v54, v114
	v_add_co_ci_u32_e32 v55, vcc_lo, v55, v115, vcc_lo
	s_delay_alu instid0(VALU_DEP_4) | instskip(SKIP_3) | instid1(VALU_DEP_1)
	v_cmp_gt_i32_e32 vcc_lo, 1, v68
	s_or_b32 s3, vcc_lo, s3
	s_waitcnt vmcnt(2) lgkmcnt(2)
	v_add_co_u32 v80, s13, v80, v82
	v_add_co_ci_u32_e64 v81, s13, v81, v83, s13
	s_waitcnt vmcnt(0) lgkmcnt(0)
	v_add_co_u32 v82, s13, v134, v132
	s_delay_alu instid0(VALU_DEP_1) | instskip(SKIP_4) | instid1(VALU_DEP_1)
	v_add_co_ci_u32_e64 v83, s13, v135, v133, s13
	s_clause 0x1
	flat_store_b64 v[64:65], v[80:81] glc slc dlc
	flat_store_b64 v[64:65], v[82:83] offset:256 glc slc dlc
	v_add_co_u32 v64, s13, v64, v114
	v_add_co_ci_u32_e64 v65, s13, v65, v115, s13
	s_and_not1_b32 exec_lo, exec_lo, s3
	s_cbranch_execnz .LBB4_418
; %bb.419:                              ;   in Loop: Header=BB4_314 Depth=3
	s_set_inst_prefetch_distance 0x2
	s_or_b32 exec_lo, exec_lo, s3
.LBB4_420:                              ;   in Loop: Header=BB4_314 Depth=3
	s_delay_alu instid0(SALU_CYCLE_1) | instskip(SKIP_2) | instid1(VALU_DEP_1)
	s_or_b32 exec_lo, exec_lo, s2
	v_lshlrev_b32_e32 v52, 9, v69
	s_mov_b32 s2, exec_lo
	v_cmpx_ne_u32_e64 v2, v52
	s_cbranch_execz .LBB4_425
; %bb.421:                              ;   in Loop: Header=BB4_314 Depth=3
	v_lshlrev_b32_e32 v53, 5, v68
	s_delay_alu instid0(VALU_DEP_1) | instskip(NEXT) | instid1(VALU_DEP_1)
	v_sub_nc_u32_e32 v53, v67, v53
	v_ashrrev_i32_e32 v54, 31, v53
	s_delay_alu instid0(VALU_DEP_1) | instskip(NEXT) | instid1(VALU_DEP_1)
	v_lshrrev_b32_e32 v54, 27, v54
	v_add_nc_u32_e32 v54, v53, v54
	s_delay_alu instid0(VALU_DEP_1) | instskip(SKIP_1) | instid1(VALU_DEP_2)
	v_and_b32_e32 v55, 0x1fffffe0, v54
	v_lshlrev_b32_e32 v54, 3, v54
	v_sub_nc_u32_e32 v53, v53, v55
	s_delay_alu instid0(VALU_DEP_2) | instskip(NEXT) | instid1(VALU_DEP_2)
	v_and_b32_e32 v54, 0xffffff00, v54
	v_lshlrev_b32_e32 v53, 3, v53
	s_delay_alu instid0(VALU_DEP_1) | instskip(NEXT) | instid1(VALU_DEP_1)
	v_add3_u32 v52, v54, v53, v52
	v_sub_nc_u32_e32 v2, v2, v52
	s_delay_alu instid0(VALU_DEP_1)
	v_cmp_lt_i32_e32 vcc_lo, 7, v2
	s_and_b32 exec_lo, exec_lo, vcc_lo
	s_cbranch_execz .LBB4_425
; %bb.422:                              ;   in Loop: Header=BB4_314 Depth=3
	s_cbranch_execnz .LBB4_1775
; %bb.423:                              ;   in Loop: Header=BB4_314 Depth=3
	ds_load_b128 v[67:70], v0
	ds_load_b64 v[64:65], v0
	v_add_nc_u32_e32 v11, v52, v11
	s_mov_b32 s3, 0
	s_delay_alu instid0(VALU_DEP_1) | instskip(SKIP_2) | instid1(VALU_DEP_2)
	v_ashrrev_i32_e32 v80, 31, v11
	s_waitcnt lgkmcnt(1)
	v_add_co_u32 v52, vcc_lo, v67, v11
	v_add_co_ci_u32_e32 v53, vcc_lo, v68, v80, vcc_lo
	v_add_co_u32 v54, vcc_lo, v69, v11
	v_add_co_ci_u32_e32 v55, vcc_lo, v70, v80, vcc_lo
	s_waitcnt lgkmcnt(0)
	v_add_co_u32 v64, vcc_lo, v64, v11
	v_add_co_ci_u32_e32 v65, vcc_lo, v65, v80, vcc_lo
.LBB4_424:                              ;   Parent Loop BB4_55 Depth=1
                                        ;     Parent Loop BB4_312 Depth=2
                                        ;       Parent Loop BB4_314 Depth=3
                                        ; =>      This Inner Loop Header: Depth=4
	flat_load_b64 v[67:68], v[52:53] slc dlc
	flat_load_b64 v[69:70], v[54:55] slc dlc
	v_add_co_u32 v52, vcc_lo, v52, v117
	v_sub_nc_u32_e32 v2, v2, v101
	v_add_co_ci_u32_e32 v53, vcc_lo, v53, v118, vcc_lo
	v_add_co_u32 v54, vcc_lo, v54, v117
	v_add_co_ci_u32_e32 v55, vcc_lo, v55, v118, vcc_lo
	s_delay_alu instid0(VALU_DEP_4) | instskip(SKIP_3) | instid1(VALU_DEP_1)
	v_cmp_gt_i32_e32 vcc_lo, 8, v2
	s_or_b32 s3, vcc_lo, s3
	s_waitcnt vmcnt(0) lgkmcnt(0)
	v_add_co_u32 v67, s13, v69, v67
	v_add_co_ci_u32_e64 v68, s13, v70, v68, s13
	flat_store_b64 v[64:65], v[67:68] glc slc dlc
	v_add_co_u32 v64, s13, v64, v117
	s_delay_alu instid0(VALU_DEP_1)
	v_add_co_ci_u32_e64 v65, s13, v65, v118, s13
	s_and_not1_b32 exec_lo, exec_lo, s3
	s_cbranch_execnz .LBB4_424
.LBB4_425:                              ;   in Loop: Header=BB4_314 Depth=3
	s_or_b32 exec_lo, exec_lo, s2
.LBB4_426:                              ;   in Loop: Header=BB4_314 Depth=3
	s_delay_alu instid0(SALU_CYCLE_1)
	s_or_b32 exec_lo, exec_lo, s14
.LBB4_427:                              ;   in Loop: Header=BB4_314 Depth=3
	s_and_saveexec_b32 s13, s38
	s_cbranch_execz .LBB4_449
; %bb.428:                              ;   in Loop: Header=BB4_314 Depth=3
	s_and_saveexec_b32 s2, s4
	s_delay_alu instid0(SALU_CYCLE_1)
	s_xor_b32 s2, exec_lo, s2
	s_cbranch_execz .LBB4_446
; %bb.429:                              ;   in Loop: Header=BB4_314 Depth=3
	s_and_saveexec_b32 s3, s1
	s_cbranch_execz .LBB4_445
; %bb.430:                              ;   in Loop: Header=BB4_314 Depth=3
	s_mov_b32 s19, exec_lo
	s_mov_b32 s14, exec_lo
	v_mbcnt_lo_u32_b32 v2, s19, 0
	s_waitcnt lgkmcnt(0)
	s_waitcnt_vscnt null, 0x0
	buffer_gl1_inv
	buffer_gl0_inv
	v_cmpx_eq_u32_e32 0, v2
	s_cbranch_execz .LBB4_432
; %bb.431:                              ;   in Loop: Header=BB4_314 Depth=3
	s_bcnt1_i32_b32 s19, s19
	s_delay_alu instid0(SALU_CYCLE_1)
	v_mov_b32_e32 v2, s19
	ds_add_u64 v0, v[2:3]
	s_cbranch_execnz .LBB4_1755
.LBB4_432:                              ;   in Loop: Header=BB4_314 Depth=3
	s_or_b32 exec_lo, exec_lo, s14
	s_cbranch_execnz .LBB4_1731
; %bb.433:                              ;   in Loop: Header=BB4_314 Depth=3
	ds_load_b64 v[52:53], v0
	v_add_co_u32 v12, vcc_lo, v12, v86
	v_add_co_ci_u32_e32 v13, vcc_lo, 0, v13, vcc_lo
	s_mov_b32 s14, exec_lo
	s_waitcnt lgkmcnt(0)
	s_delay_alu instid0(VALU_DEP_1)
	v_cmpx_lt_u64_e64 v[52:53], v[12:13]
	s_cbranch_execz .LBB4_444
; %bb.434:                              ;   in Loop: Header=BB4_314 Depth=3
	s_mov_b32 s19, 0
	s_mov_b32 s42, 0
                                        ; implicit-def: $sgpr40
                                        ; implicit-def: $sgpr41
	s_branch .LBB4_436
.LBB4_435:                              ;   in Loop: Header=BB4_436 Depth=4
	s_or_b32 exec_lo, exec_lo, s44
	s_delay_alu instid0(SALU_CYCLE_1) | instskip(NEXT) | instid1(SALU_CYCLE_1)
	s_and_b32 vcc_lo, exec_lo, vcc_lo
	s_or_b32 s19, vcc_lo, s19
	s_and_not1_b32 vcc_lo, s40, exec_lo
	s_and_b32 s40, s41, exec_lo
	s_delay_alu instid0(SALU_CYCLE_1)
	s_or_b32 s40, vcc_lo, s40
	s_and_not1_b32 exec_lo, exec_lo, s19
	s_cbranch_execz .LBB4_442
.LBB4_436:                              ;   Parent Loop BB4_55 Depth=1
                                        ;     Parent Loop BB4_312 Depth=2
                                        ;       Parent Loop BB4_314 Depth=3
                                        ; =>      This Inner Loop Header: Depth=4
	s_add_i32 s42, s42, 1
                                        ; implicit-def: $sgpr44
	s_delay_alu instid0(SALU_CYCLE_1) | instskip(SKIP_1) | instid1(SALU_CYCLE_1)
	s_cmpk_lg_i32 s42, 0x2710
	s_cselect_b32 s43, -1, 0
	s_and_b32 vcc_lo, exec_lo, s43
	s_cbranch_vccz .LBB4_440
.LBB4_437:                              ;   in Loop: Header=BB4_436 Depth=4
	s_and_not1_b32 s41, s41, exec_lo
	s_and_b32 s44, s44, exec_lo
	s_mov_b32 vcc_lo, -1
	s_or_b32 s41, s41, s44
	s_and_saveexec_b32 s44, s43
	s_cbranch_execz .LBB4_435
; %bb.438:                              ;   in Loop: Header=BB4_436 Depth=4
	s_sleep 1
	s_cbranch_execnz .LBB4_1809
; %bb.439:                              ;   in Loop: Header=BB4_436 Depth=4
	ds_load_b64 v[52:53], v0
	s_and_not1_b32 s41, s41, exec_lo
	s_waitcnt lgkmcnt(0)
	v_cmp_ge_u64_e32 vcc_lo, v[52:53], v[12:13]
	s_or_not1_b32 vcc_lo, vcc_lo, exec_lo
	s_branch .LBB4_435
.LBB4_440:                              ;   in Loop: Header=BB4_436 Depth=4
	s_cbranch_execnz .LBB4_1823
; %bb.441:                              ;   in Loop: Header=BB4_436 Depth=4
	ds_load_b64 v[52:53], v0
	s_and_not1_b32 s43, s43, exec_lo
	s_mov_b32 s42, 0
	s_mov_b32 s44, -1
	s_waitcnt lgkmcnt(0)
	flat_load_b32 v2, v[52:53] glc
	s_waitcnt vmcnt(0) lgkmcnt(0)
	buffer_gl1_inv
	buffer_gl0_inv
	v_cmp_eq_u32_e32 vcc_lo, 0, v2
	s_and_b32 vcc_lo, vcc_lo, exec_lo
	s_delay_alu instid0(SALU_CYCLE_1)
	s_or_b32 s43, s43, vcc_lo
	s_branch .LBB4_437
.LBB4_442:                              ;   in Loop: Header=BB4_314 Depth=3
	s_or_b32 exec_lo, exec_lo, s19
	s_and_saveexec_b32 s19, s40
	s_delay_alu instid0(SALU_CYCLE_1)
	s_xor_b32 s19, exec_lo, s19
	s_cbranch_execz .LBB4_444
; %bb.443:                              ;   in Loop: Header=BB4_314 Depth=3
	ds_store_b32 v0, v131
	s_cbranch_execnz .LBB4_1953
.LBB4_444:                              ;   in Loop: Header=BB4_314 Depth=3
	s_or_b32 exec_lo, exec_lo, s14
	;;#ASMSTART
	s_wakeup
	;;#ASMEND
.LBB4_445:                              ;   in Loop: Header=BB4_314 Depth=3
	s_or_b32 exec_lo, exec_lo, s3
.LBB4_446:                              ;   in Loop: Header=BB4_314 Depth=3
	s_and_not1_saveexec_b32 s2, s2
	s_cbranch_execz .LBB4_448
; %bb.447:                              ;   in Loop: Header=BB4_314 Depth=3
	s_waitcnt lgkmcnt(0)
	s_waitcnt_vscnt null, 0x0
	buffer_gl1_inv
	buffer_gl0_inv
	s_barrier
.LBB4_448:                              ;   in Loop: Header=BB4_314 Depth=3
	s_or_b32 exec_lo, exec_lo, s2
.LBB4_449:                              ;   in Loop: Header=BB4_314 Depth=3
	s_delay_alu instid0(SALU_CYCLE_1) | instskip(SKIP_1) | instid1(SALU_CYCLE_1)
	s_or_b32 exec_lo, exec_lo, s13
                                        ; implicit-def: $vgpr2
	s_and_saveexec_b32 s2, s7
	s_xor_b32 s2, exec_lo, s2
	s_cbranch_execz .LBB4_453
; %bb.450:                              ;   in Loop: Header=BB4_314 Depth=3
	v_and_b32_e32 v2, 16, v30
	v_cmp_lt_i32_e32 vcc_lo, 0, v9
	s_delay_alu instid0(VALU_DEP_2) | instskip(SKIP_1) | instid1(VALU_DEP_2)
	v_cmp_ne_u32_e64 s13, 0, v2
	v_and_b32_e32 v2, 16, v30
	s_and_b32 s13, s13, vcc_lo
	s_delay_alu instid0(SALU_CYCLE_1)
	s_and_saveexec_b32 s3, s13
	s_cbranch_execz .LBB4_452
; %bb.451:                              ;   in Loop: Header=BB4_314 Depth=3
	v_mov_b32_e32 v2, 1
	s_waitcnt lgkmcnt(0)
	s_waitcnt_vscnt null, 0x0
	buffer_gl1_inv
	buffer_gl0_inv
.LBB4_452:                              ;   in Loop: Header=BB4_314 Depth=3
	s_or_b32 exec_lo, exec_lo, s3
.LBB4_453:                              ;   in Loop: Header=BB4_314 Depth=3
	s_and_not1_saveexec_b32 s13, s2
	s_cbranch_execz .LBB4_475
; %bb.454:                              ;   in Loop: Header=BB4_314 Depth=3
	s_and_saveexec_b32 s2, s4
	s_delay_alu instid0(SALU_CYCLE_1)
	s_xor_b32 s2, exec_lo, s2
	s_cbranch_execz .LBB4_472
; %bb.455:                              ;   in Loop: Header=BB4_314 Depth=3
	s_and_saveexec_b32 s3, s1
	s_cbranch_execz .LBB4_471
; %bb.456:                              ;   in Loop: Header=BB4_314 Depth=3
	s_mov_b32 s19, exec_lo
	s_mov_b32 s14, exec_lo
	v_mbcnt_lo_u32_b32 v2, s19, 0
	;;#ASMSTART
	s_waitcnt lgkmcnt(0) vmcnt(0)
	;;#ASMEND
	s_delay_alu instid0(VALU_DEP_1)
	v_cmpx_eq_u32_e32 0, v2
	s_cbranch_execz .LBB4_458
; %bb.457:                              ;   in Loop: Header=BB4_314 Depth=3
	s_bcnt1_i32_b32 s19, s19
	s_delay_alu instid0(SALU_CYCLE_1)
	v_mov_b32_e32 v2, s19
	ds_add_u64 v0, v[2:3]
	s_cbranch_execnz .LBB4_1757
.LBB4_458:                              ;   in Loop: Header=BB4_314 Depth=3
	s_or_b32 exec_lo, exec_lo, s14
	s_cbranch_execnz .LBB4_1735
; %bb.459:                              ;   in Loop: Header=BB4_314 Depth=3
	ds_load_b64 v[52:53], v0
	v_add_co_u32 v12, vcc_lo, v12, v86
	v_add_co_ci_u32_e32 v13, vcc_lo, 0, v13, vcc_lo
	s_mov_b32 s14, exec_lo
	s_waitcnt lgkmcnt(0)
	s_delay_alu instid0(VALU_DEP_1)
	v_cmpx_lt_u64_e64 v[52:53], v[12:13]
	s_cbranch_execz .LBB4_470
; %bb.460:                              ;   in Loop: Header=BB4_314 Depth=3
	s_mov_b32 s19, 0
	s_mov_b32 s42, 0
                                        ; implicit-def: $sgpr40
                                        ; implicit-def: $sgpr41
	s_branch .LBB4_462
.LBB4_461:                              ;   in Loop: Header=BB4_462 Depth=4
	s_or_b32 exec_lo, exec_lo, s44
	s_delay_alu instid0(SALU_CYCLE_1) | instskip(NEXT) | instid1(SALU_CYCLE_1)
	s_and_b32 vcc_lo, exec_lo, vcc_lo
	s_or_b32 s19, vcc_lo, s19
	s_and_not1_b32 vcc_lo, s40, exec_lo
	s_and_b32 s40, s41, exec_lo
	s_delay_alu instid0(SALU_CYCLE_1)
	s_or_b32 s40, vcc_lo, s40
	s_and_not1_b32 exec_lo, exec_lo, s19
	s_cbranch_execz .LBB4_468
.LBB4_462:                              ;   Parent Loop BB4_55 Depth=1
                                        ;     Parent Loop BB4_312 Depth=2
                                        ;       Parent Loop BB4_314 Depth=3
                                        ; =>      This Inner Loop Header: Depth=4
	s_add_i32 s42, s42, 1
                                        ; implicit-def: $sgpr44
	s_delay_alu instid0(SALU_CYCLE_1) | instskip(SKIP_1) | instid1(SALU_CYCLE_1)
	s_cmpk_lg_i32 s42, 0x2710
	s_cselect_b32 s43, -1, 0
	s_and_b32 vcc_lo, exec_lo, s43
	s_cbranch_vccz .LBB4_466
.LBB4_463:                              ;   in Loop: Header=BB4_462 Depth=4
	s_and_not1_b32 s41, s41, exec_lo
	s_and_b32 s44, s44, exec_lo
	s_mov_b32 vcc_lo, -1
	s_or_b32 s41, s41, s44
	s_and_saveexec_b32 s44, s43
	s_cbranch_execz .LBB4_461
; %bb.464:                              ;   in Loop: Header=BB4_462 Depth=4
	s_sleep 1
	s_cbranch_execnz .LBB4_1811
; %bb.465:                              ;   in Loop: Header=BB4_462 Depth=4
	ds_load_b64 v[52:53], v0
	s_and_not1_b32 s41, s41, exec_lo
	s_waitcnt lgkmcnt(0)
	v_cmp_ge_u64_e32 vcc_lo, v[52:53], v[12:13]
	s_or_not1_b32 vcc_lo, vcc_lo, exec_lo
	s_branch .LBB4_461
.LBB4_466:                              ;   in Loop: Header=BB4_462 Depth=4
	s_cbranch_execnz .LBB4_1831
; %bb.467:                              ;   in Loop: Header=BB4_462 Depth=4
	ds_load_b64 v[52:53], v0
	s_and_not1_b32 s43, s43, exec_lo
	s_mov_b32 s42, 0
	s_mov_b32 s44, -1
	s_waitcnt lgkmcnt(0)
	s_waitcnt_vscnt null, 0x0
	flat_load_b32 v2, v[52:53] glc
	s_waitcnt vmcnt(0) lgkmcnt(0)
	buffer_gl1_inv
	buffer_gl0_inv
	v_cmp_eq_u32_e32 vcc_lo, 0, v2
	s_and_b32 vcc_lo, vcc_lo, exec_lo
	s_delay_alu instid0(SALU_CYCLE_1)
	s_or_b32 s43, s43, vcc_lo
	s_branch .LBB4_463
.LBB4_468:                              ;   in Loop: Header=BB4_314 Depth=3
	s_or_b32 exec_lo, exec_lo, s19
	s_and_saveexec_b32 s19, s40
	s_delay_alu instid0(SALU_CYCLE_1)
	s_xor_b32 s19, exec_lo, s19
	s_cbranch_execz .LBB4_470
; %bb.469:                              ;   in Loop: Header=BB4_314 Depth=3
	ds_store_b32 v0, v131
	s_cbranch_execnz .LBB4_1955
.LBB4_470:                              ;   in Loop: Header=BB4_314 Depth=3
	s_or_b32 exec_lo, exec_lo, s14
	;;#ASMSTART
	s_wakeup
	;;#ASMEND
.LBB4_471:                              ;   in Loop: Header=BB4_314 Depth=3
	s_or_b32 exec_lo, exec_lo, s3
.LBB4_472:                              ;   in Loop: Header=BB4_314 Depth=3
	s_and_not1_saveexec_b32 s2, s2
	s_cbranch_execz .LBB4_474
; %bb.473:                              ;   in Loop: Header=BB4_314 Depth=3
	;;#ASMSTART
	s_waitcnt lgkmcnt(0) vmcnt(0)
	;;#ASMEND
	s_waitcnt lgkmcnt(0)
	s_waitcnt_vscnt null, 0x0
	s_barrier
.LBB4_474:                              ;   in Loop: Header=BB4_314 Depth=3
	s_or_b32 exec_lo, exec_lo, s2
	v_and_b32_e32 v2, 16, v30
.LBB4_475:                              ;   in Loop: Header=BB4_314 Depth=3
	s_or_b32 exec_lo, exec_lo, s13
	s_delay_alu instid0(VALU_DEP_1) | instskip(SKIP_1) | instid1(SALU_CYCLE_1)
	v_cmp_ne_u32_e32 vcc_lo, 0, v2
	s_xor_b32 s2, s10, -1
	s_and_b32 s3, vcc_lo, s2
	s_delay_alu instid0(SALU_CYCLE_1)
	s_and_saveexec_b32 s2, s3
	s_cbranch_execz .LBB4_477
; %bb.476:                              ;   in Loop: Header=BB4_314 Depth=3
	s_waitcnt lgkmcnt(0)
	s_waitcnt_vscnt null, 0x0
	flat_store_b32 v[26:27], v131
.LBB4_477:                              ;   in Loop: Header=BB4_314 Depth=3
	s_or_b32 exec_lo, exec_lo, s2
	v_and_b32_e32 v2, 48, v30
	s_mov_b32 s2, exec_lo
	s_delay_alu instid0(VALU_DEP_1)
	v_cmpx_ne_u32_e32 0, v2
	s_cbranch_execz .LBB4_479
; %bb.478:                              ;   in Loop: Header=BB4_314 Depth=3
	v_add_co_u32 v22, vcc_lo, v22, 2
	v_add_co_ci_u32_e32 v23, vcc_lo, 0, v23, vcc_lo
	s_waitcnt lgkmcnt(0)
	s_waitcnt_vscnt null, 0x0
	flat_store_b64 v[20:21], v[22:23]
.LBB4_479:                              ;   in Loop: Header=BB4_314 Depth=3
	s_or_b32 exec_lo, exec_lo, s2
	v_add_nc_u32_e32 v10, v8, v10
	v_readlane_b32 s2, v42, 18
	s_mov_b32 s13, 0
	s_mov_b32 s19, 2
	;; [unrolled: 1-line block ×3, first 2 shown]
	v_cmp_ge_i32_e32 vcc_lo, v10, v66
	s_xor_b32 s2, s2, -1
	s_mov_b32 s37, s12
	s_or_b32 s2, s2, vcc_lo
	s_delay_alu instid0(SALU_CYCLE_1) | instskip(SKIP_2) | instid1(VALU_DEP_1)
	s_and_b32 s3, exec_lo, s2
	v_readlane_b32 s2, v42, 19
	s_or_b32 s17, s3, s17
	v_mov_b32_e32 v2, s2
	s_mov_b32 s2, s21
	s_and_not1_b32 exec_lo, exec_lo, s17
	s_cbranch_execnz .LBB4_314
; %bb.480:                              ;   in Loop: Header=BB4_312 Depth=2
	s_or_b32 exec_lo, exec_lo, s17
.LBB4_481:                              ;   in Loop: Header=BB4_312 Depth=2
	s_delay_alu instid0(SALU_CYCLE_1) | instskip(NEXT) | instid1(SALU_CYCLE_1)
	s_or_b32 exec_lo, exec_lo, s16
	s_mov_b32 s12, exec_lo
	v_cmpx_gt_i32_e32 2, v2
	s_cbranch_execz .LBB4_565
; %bb.482:                              ;   in Loop: Header=BB4_312 Depth=2
	v_cmp_eq_u32_e64 s13, 0, v2
	s_mov_b32 s16, 0
.LBB4_483:                              ;   Parent Loop BB4_55 Depth=1
                                        ;     Parent Loop BB4_312 Depth=2
                                        ; =>    This Loop Header: Depth=3
                                        ;         Child Loop BB4_489 Depth 4
                                        ;         Child Loop BB4_519 Depth 4
	;; [unrolled: 1-line block ×3, first 2 shown]
	v_and_b32_e32 v2, 12, v30
	s_mov_b32 s19, -1
	s_mov_b32 s3, exec_lo
	s_delay_alu instid0(VALU_DEP_1)
	v_cmpx_ne_u32_e32 0, v2
	s_cbranch_execz .LBB4_497
; %bb.484:                              ;   in Loop: Header=BB4_483 Depth=3
	v_dual_mov_b32 v9, 1 :: v_dual_and_b32 v2, 8, v30
	s_mov_b32 s17, s37
	s_mov_b32 s19, exec_lo
	s_delay_alu instid0(VALU_DEP_1) | instskip(SKIP_3) | instid1(VALU_DEP_1)
	v_add_co_u32 v52, vcc_lo, v28, v2
	v_add_co_ci_u32_e32 v53, vcc_lo, 0, v29, vcc_lo
	v_add_co_u32 v50, vcc_lo, v22, 2
	v_add_co_ci_u32_e32 v51, vcc_lo, 0, v23, vcc_lo
	v_cmpx_lt_u64_e64 v[52:53], v[50:51]
	s_cbranch_execz .LBB4_496
; %bb.485:                              ;   in Loop: Header=BB4_483 Depth=3
	v_mov_b32_e32 v9, 0
	s_mov_b32 s21, 0
                                        ; implicit-def: $sgpr37
	s_branch .LBB4_489
.LBB4_486:                              ;   in Loop: Header=BB4_489 Depth=4
	s_or_b32 exec_lo, exec_lo, s43
	v_mov_b32_e32 v11, 0
	s_or_not1_b32 s42, s42, exec_lo
.LBB4_487:                              ;   in Loop: Header=BB4_489 Depth=4
	s_or_b32 exec_lo, exec_lo, s41
	s_delay_alu instid0(VALU_DEP_1) | instskip(SKIP_2) | instid1(SALU_CYCLE_1)
	v_mov_b32_e32 v9, v11
	s_and_not1_b32 vcc_lo, s37, exec_lo
	s_and_b32 s37, s42, exec_lo
	s_or_b32 s37, vcc_lo, s37
.LBB4_488:                              ;   in Loop: Header=BB4_489 Depth=4
	s_or_b32 exec_lo, exec_lo, s40
	s_waitcnt vmcnt(0) lgkmcnt(0)
	v_add_co_u32 v52, vcc_lo, v28, v2
	v_add_co_ci_u32_e32 v53, vcc_lo, 0, v29, vcc_lo
	s_xor_b32 s40, s37, -1
	s_delay_alu instid0(VALU_DEP_1) | instskip(SKIP_1) | instid1(SALU_CYCLE_1)
	v_cmp_ge_u64_e32 vcc_lo, v[52:53], v[50:51]
	s_or_b32 vcc_lo, s40, vcc_lo
	s_and_b32 vcc_lo, exec_lo, vcc_lo
	s_delay_alu instid0(SALU_CYCLE_1) | instskip(NEXT) | instid1(SALU_CYCLE_1)
	s_or_b32 s21, vcc_lo, s21
	s_and_not1_b32 exec_lo, exec_lo, s21
	s_cbranch_execz .LBB4_495
.LBB4_489:                              ;   Parent Loop BB4_55 Depth=1
                                        ;     Parent Loop BB4_312 Depth=2
                                        ;       Parent Loop BB4_483 Depth=3
                                        ; =>      This Inner Loop Header: Depth=4
	s_sleep 1
	flat_load_b64 v[28:29], v[20:21] glc
	v_and_b32_e32 v11, 64, v30
	s_and_not1_b32 s37, s37, exec_lo
	s_mov_b32 s40, exec_lo
	s_delay_alu instid0(VALU_DEP_1)
	v_cmpx_eq_u32_e32 0, v11
	s_cbranch_execz .LBB4_488
; %bb.490:                              ;   in Loop: Header=BB4_489 Depth=4
	v_add_nc_u32_e32 v11, 1, v9
	s_mov_b32 s42, -1
	s_mov_b32 s41, exec_lo
	v_cmpx_lt_i32_e32 0x270e, v9
	s_cbranch_execz .LBB4_487
; %bb.491:                              ;   in Loop: Header=BB4_489 Depth=4
	s_cbranch_execnz .LBB4_1555
; %bb.492:                              ;   in Loop: Header=BB4_489 Depth=4
	ds_load_b64 v[52:53], v0
	s_mov_b32 s43, exec_lo
	s_waitcnt vmcnt(0) lgkmcnt(0)
	s_waitcnt_vscnt null, 0x0
	flat_load_b32 v9, v[52:53] glc
	s_waitcnt vmcnt(0) lgkmcnt(0)
	buffer_gl1_inv
	buffer_gl0_inv
	v_cmpx_ne_u32_e32 0, v9
	s_cbranch_execz .LBB4_486
; %bb.493:                              ;   in Loop: Header=BB4_489 Depth=4
	ds_store_b32 v0, v9
	s_cbranch_execnz .LBB4_1603
; %bb.494:                              ;   in Loop: Header=BB4_489 Depth=4
	v_or_b32_e32 v30, 64, v30
	s_xor_b32 s42, exec_lo, -1
	s_branch .LBB4_486
.LBB4_495:                              ;   in Loop: Header=BB4_483 Depth=3
	s_or_b32 exec_lo, exec_lo, s21
	v_and_b32_e32 v9, 12, v30
.LBB4_496:                              ;   in Loop: Header=BB4_483 Depth=3
	s_or_b32 exec_lo, exec_lo, s19
	s_delay_alu instid0(VALU_DEP_1)
	v_cmp_eq_u32_e32 vcc_lo, 0, v9
	s_mov_b32 s37, s17
	;;#ASMSTART
	s_wakeup
	;;#ASMEND
	s_or_not1_b32 s19, vcc_lo, exec_lo
.LBB4_497:                              ;   in Loop: Header=BB4_483 Depth=3
	s_or_b32 exec_lo, exec_lo, s3
	v_sub_nc_u32_e32 v2, v66, v10
	s_xor_b32 s3, s13, -1
	s_delay_alu instid0(SALU_CYCLE_1) | instskip(NEXT) | instid1(SALU_CYCLE_1)
	s_and_b32 s3, exec_lo, s3
	s_or_b32 s16, s3, s16
	s_delay_alu instid0(VALU_DEP_1) | instskip(SKIP_1) | instid1(SALU_CYCLE_1)
	v_min_i32_e32 v8, v8, v2
	s_xor_b32 s13, s19, -1
	s_and_saveexec_b32 s3, s13
	s_cbranch_execz .LBB4_510
; %bb.498:                              ;   in Loop: Header=BB4_483 Depth=3
	v_and_b32_e32 v2, 0x108, v30
	s_mov_b32 s17, s37
	s_delay_alu instid0(VALU_DEP_1) | instskip(SKIP_2) | instid1(SALU_CYCLE_1)
	v_cmp_ne_u32_e32 vcc_lo, 0x108, v2
	v_and_b32_e32 v2, 7, v22
	s_and_saveexec_b32 s13, vcc_lo
	s_xor_b32 s13, exec_lo, s13
	s_delay_alu instid0(SALU_CYCLE_1)
	s_and_not1_saveexec_b32 s13, s13
	s_cbranch_execz .LBB4_500
; %bb.499:                              ;   in Loop: Header=BB4_483 Depth=3
	v_ashrrev_i32_e32 v9, 31, v8
	v_mad_u64_u32 v[50:51], null, v2, 24, v[6:7]
	s_delay_alu instid0(VALU_DEP_2)
	v_lshlrev_b64 v[52:53], 3, v[8:9]
	flat_store_b64 v[50:51], v[52:53] offset:8
.LBB4_500:                              ;   in Loop: Header=BB4_483 Depth=3
	s_or_b32 exec_lo, exec_lo, s13
	v_and_b32_e32 v9, 0x100, v30
	s_mov_b32 s13, -1
	s_mov_b32 s19, exec_lo
                                        ; implicit-def: $vgpr50_vgpr51
	s_delay_alu instid0(VALU_DEP_1)
	v_cmpx_ne_u32_e32 0, v9
	s_cbranch_execz .LBB4_505
; %bb.501:                              ;   in Loop: Header=BB4_483 Depth=3
	v_mad_u64_u32 v[52:53], null, v2, 24, v[6:7]
	s_mov_b32 s21, exec_lo
	s_delay_alu instid0(VALU_DEP_1) | instskip(NEXT) | instid1(VALU_DEP_1)
	v_mov_b32_e32 v9, v53
	v_mad_u64_u32 v[50:51], null, v3, 24, v[9:10]
	s_delay_alu instid0(VALU_DEP_1)
	v_mov_b32_e32 v53, v50
                                        ; implicit-def: $vgpr50_vgpr51
	flat_load_b32 v9, v[52:53]
	s_waitcnt vmcnt(0) lgkmcnt(0)
	v_cmp_ne_u32_e32 vcc_lo, 1, v9
	v_cmpx_eq_u32_e32 1, v9
	s_cbranch_execz .LBB4_503
; %bb.502:                              ;   in Loop: Header=BB4_483 Depth=3
	flat_load_b32 v50, v[52:53] offset:4 glc
	s_waitcnt vmcnt(0) lgkmcnt(0)
	v_ashrrev_i32_e32 v51, 31, v50
	s_delay_alu instid0(VALU_DEP_1)
	v_lshrrev_b64 v[50:51], 3, v[50:51]
.LBB4_503:                              ;   in Loop: Header=BB4_483 Depth=3
	s_or_b32 exec_lo, exec_lo, s21
	s_delay_alu instid0(SALU_CYCLE_1)
	s_or_not1_b32 s13, vcc_lo, exec_lo
	s_or_b32 exec_lo, exec_lo, s19
	s_and_saveexec_b32 s19, s13
	s_cbranch_execnz .LBB4_506
.LBB4_504:                              ;   in Loop: Header=BB4_483 Depth=3
	s_or_b32 exec_lo, exec_lo, s19
	s_cbranch_execz .LBB4_507
	s_branch .LBB4_1547
.LBB4_505:                              ;   in Loop: Header=BB4_483 Depth=3
	s_or_b32 exec_lo, exec_lo, s19
	s_and_saveexec_b32 s19, s13
	s_cbranch_execz .LBB4_504
.LBB4_506:                              ;   in Loop: Header=BB4_483 Depth=3
	v_mul_lo_u32 v9, v3, v84
	v_mul_lo_u32 v11, v2, v85
	v_mad_u64_u32 v[50:51], null, v2, v84, 0
	s_delay_alu instid0(VALU_DEP_1)
	v_add3_u32 v51, v51, v11, v9
	s_or_b32 exec_lo, exec_lo, s19
	s_cbranch_execnz .LBB4_1547
.LBB4_507:                              ;   in Loop: Header=BB4_483 Depth=3
	s_delay_alu instid0(VALU_DEP_1) | instskip(SKIP_2) | instid1(VALU_DEP_2)
	v_lshlrev_b64 v[50:51], 3, v[50:51]
	v_and_b32_e32 v2, 0x2000, v30
	s_mov_b32 s13, exec_lo
	v_add_co_u32 v50, vcc_lo, v24, v50
	s_delay_alu instid0(VALU_DEP_3)
	v_add_co_ci_u32_e32 v51, vcc_lo, v25, v51, vcc_lo
	ds_store_b64 v0, v[50:51]
	v_cmpx_ne_u32_e32 0, v2
	s_cbranch_execz .LBB4_509
; %bb.508:                              ;   in Loop: Header=BB4_483 Depth=3
	ds_load_b64 v[50:51], v0 offset:584
	s_waitcnt lgkmcnt(0)
	v_add_co_u32 v50, vcc_lo, v50, 1
	v_add_co_ci_u32_e32 v51, vcc_lo, 0, v51, vcc_lo
	ds_store_b64 v0, v[50:51] offset:584
.LBB4_509:                              ;   in Loop: Header=BB4_483 Depth=3
	s_or_b32 exec_lo, exec_lo, s13
	v_add_co_u32 v22, vcc_lo, v22, 2
	v_add_co_ci_u32_e32 v23, vcc_lo, 0, v23, vcc_lo
	s_mov_b32 s37, s17
.LBB4_510:                              ;   in Loop: Header=BB4_483 Depth=3
	s_or_b32 exec_lo, exec_lo, s3
	s_and_saveexec_b32 s13, s38
	s_cbranch_execz .LBB4_532
; %bb.511:                              ;   in Loop: Header=BB4_483 Depth=3
	s_mov_b32 s17, s37
	s_mov_b32 s3, s4
	s_and_saveexec_b32 s19, s4
	s_delay_alu instid0(SALU_CYCLE_1)
	s_xor_b32 s4, exec_lo, s19
	s_cbranch_execz .LBB4_529
; %bb.512:                              ;   in Loop: Header=BB4_483 Depth=3
	s_and_saveexec_b32 s19, s1
	s_cbranch_execz .LBB4_528
; %bb.513:                              ;   in Loop: Header=BB4_483 Depth=3
	s_mov_b32 s37, exec_lo
	s_mov_b32 s21, exec_lo
	v_mbcnt_lo_u32_b32 v2, s37, 0
	s_waitcnt lgkmcnt(0)
	s_waitcnt_vscnt null, 0x0
	buffer_gl1_inv
	buffer_gl0_inv
	v_cmpx_eq_u32_e32 0, v2
	s_cbranch_execz .LBB4_515
; %bb.514:                              ;   in Loop: Header=BB4_483 Depth=3
	s_bcnt1_i32_b32 vcc_lo, s37
	s_delay_alu instid0(SALU_CYCLE_1)
	v_mov_b32_e32 v2, vcc_lo
	ds_add_u64 v0, v[2:3]
	s_cbranch_execnz .LBB4_1657
.LBB4_515:                              ;   in Loop: Header=BB4_483 Depth=3
	s_or_b32 exec_lo, exec_lo, s21
	s_cbranch_execnz .LBB4_1623
; %bb.516:                              ;   in Loop: Header=BB4_483 Depth=3
	ds_load_b64 v[50:51], v0
	v_add_co_u32 v12, vcc_lo, v12, v86
	v_add_co_ci_u32_e32 v13, vcc_lo, 0, v13, vcc_lo
	s_mov_b32 s21, exec_lo
	s_waitcnt lgkmcnt(0)
	s_delay_alu instid0(VALU_DEP_1)
	v_cmpx_lt_u64_e64 v[50:51], v[12:13]
	s_cbranch_execz .LBB4_527
; %bb.517:                              ;   in Loop: Header=BB4_483 Depth=3
	s_mov_b32 s37, 0
	s_mov_b32 s42, 0
                                        ; implicit-def: $sgpr40
                                        ; implicit-def: $sgpr41
	s_branch .LBB4_519
.LBB4_518:                              ;   in Loop: Header=BB4_519 Depth=4
	s_or_b32 exec_lo, exec_lo, s44
	s_delay_alu instid0(SALU_CYCLE_1) | instskip(NEXT) | instid1(SALU_CYCLE_1)
	s_and_b32 vcc_lo, exec_lo, vcc_lo
	s_or_b32 s37, vcc_lo, s37
	s_and_not1_b32 vcc_lo, s40, exec_lo
	s_and_b32 s40, s41, exec_lo
	s_delay_alu instid0(SALU_CYCLE_1)
	s_or_b32 s40, vcc_lo, s40
	s_and_not1_b32 exec_lo, exec_lo, s37
	s_cbranch_execz .LBB4_525
.LBB4_519:                              ;   Parent Loop BB4_55 Depth=1
                                        ;     Parent Loop BB4_312 Depth=2
                                        ;       Parent Loop BB4_483 Depth=3
                                        ; =>      This Inner Loop Header: Depth=4
	s_add_i32 s42, s42, 1
                                        ; implicit-def: $sgpr44
	s_delay_alu instid0(SALU_CYCLE_1) | instskip(SKIP_1) | instid1(SALU_CYCLE_1)
	s_cmpk_lg_i32 s42, 0x2710
	s_cselect_b32 s43, -1, 0
	s_and_b32 vcc_lo, exec_lo, s43
	s_cbranch_vccz .LBB4_523
.LBB4_520:                              ;   in Loop: Header=BB4_519 Depth=4
	s_and_not1_b32 s41, s41, exec_lo
	s_and_b32 s44, s44, exec_lo
	s_mov_b32 vcc_lo, -1
	s_or_b32 s41, s41, s44
	s_and_saveexec_b32 s44, s43
	s_cbranch_execz .LBB4_518
; %bb.521:                              ;   in Loop: Header=BB4_519 Depth=4
	s_sleep 1
	s_cbranch_execnz .LBB4_1705
; %bb.522:                              ;   in Loop: Header=BB4_519 Depth=4
	ds_load_b64 v[50:51], v0
	s_and_not1_b32 s41, s41, exec_lo
	s_waitcnt lgkmcnt(0)
	v_cmp_ge_u64_e32 vcc_lo, v[50:51], v[12:13]
	s_or_not1_b32 vcc_lo, vcc_lo, exec_lo
	s_branch .LBB4_518
.LBB4_523:                              ;   in Loop: Header=BB4_519 Depth=4
	s_cbranch_execnz .LBB4_1715
; %bb.524:                              ;   in Loop: Header=BB4_519 Depth=4
	ds_load_b64 v[50:51], v0
	s_and_not1_b32 s43, s43, exec_lo
	s_mov_b32 s42, 0
	s_mov_b32 s44, -1
	s_waitcnt lgkmcnt(0)
	flat_load_b32 v2, v[50:51] glc
	s_waitcnt vmcnt(0) lgkmcnt(0)
	buffer_gl1_inv
	buffer_gl0_inv
	v_cmp_eq_u32_e32 vcc_lo, 0, v2
	s_and_b32 vcc_lo, vcc_lo, exec_lo
	s_delay_alu instid0(SALU_CYCLE_1)
	s_or_b32 s43, s43, vcc_lo
	s_branch .LBB4_520
.LBB4_525:                              ;   in Loop: Header=BB4_483 Depth=3
	s_or_b32 exec_lo, exec_lo, s37
	s_and_saveexec_b32 vcc_lo, s40
	s_delay_alu instid0(SALU_CYCLE_1)
	s_xor_b32 vcc_lo, exec_lo, vcc_lo
	s_cbranch_execz .LBB4_527
; %bb.526:                              ;   in Loop: Header=BB4_483 Depth=3
	ds_store_b32 v0, v131
	s_cbranch_execnz .LBB4_1915
.LBB4_527:                              ;   in Loop: Header=BB4_483 Depth=3
	s_or_b32 exec_lo, exec_lo, s21
	;;#ASMSTART
	s_wakeup
	;;#ASMEND
.LBB4_528:                              ;   in Loop: Header=BB4_483 Depth=3
	s_or_b32 exec_lo, exec_lo, s19
.LBB4_529:                              ;   in Loop: Header=BB4_483 Depth=3
	s_and_not1_saveexec_b32 s4, s4
	s_cbranch_execz .LBB4_531
; %bb.530:                              ;   in Loop: Header=BB4_483 Depth=3
	s_waitcnt lgkmcnt(0)
	s_waitcnt_vscnt null, 0x0
	buffer_gl1_inv
	buffer_gl0_inv
	s_barrier
.LBB4_531:                              ;   in Loop: Header=BB4_483 Depth=3
	s_or_b32 exec_lo, exec_lo, s4
	s_mov_b32 s37, s17
	s_mov_b32 s4, s3
.LBB4_532:                              ;   in Loop: Header=BB4_483 Depth=3
	s_mov_b32 s17, s37
	s_or_b32 exec_lo, exec_lo, s13
	s_mov_b32 s21, s35
                                        ; implicit-def: $vgpr2
	s_and_saveexec_b32 s3, s35
	s_delay_alu instid0(SALU_CYCLE_1)
	s_xor_b32 s13, exec_lo, s3
	s_cbranch_execz .LBB4_554
; %bb.533:                              ;   in Loop: Header=BB4_483 Depth=3
	s_mov_b32 s3, s4
	s_and_saveexec_b32 s19, s4
	s_delay_alu instid0(SALU_CYCLE_1)
	s_xor_b32 s4, exec_lo, s19
	s_cbranch_execz .LBB4_551
; %bb.534:                              ;   in Loop: Header=BB4_483 Depth=3
	s_and_saveexec_b32 s19, s1
	s_cbranch_execz .LBB4_550
; %bb.535:                              ;   in Loop: Header=BB4_483 Depth=3
	s_mov_b32 s37, exec_lo
	s_mov_b32 s35, exec_lo
	v_mbcnt_lo_u32_b32 v2, s37, 0
	;;#ASMSTART
	s_waitcnt lgkmcnt(0) vmcnt(0)
	;;#ASMEND
	s_delay_alu instid0(VALU_DEP_1)
	v_cmpx_eq_u32_e32 0, v2
	s_cbranch_execz .LBB4_537
; %bb.536:                              ;   in Loop: Header=BB4_483 Depth=3
	s_bcnt1_i32_b32 vcc_lo, s37
	s_delay_alu instid0(SALU_CYCLE_1)
	v_mov_b32_e32 v2, vcc_lo
	ds_add_u64 v0, v[2:3]
	s_cbranch_execnz .LBB4_1665
.LBB4_537:                              ;   in Loop: Header=BB4_483 Depth=3
	s_or_b32 exec_lo, exec_lo, s35
	s_cbranch_execnz .LBB4_1633
; %bb.538:                              ;   in Loop: Header=BB4_483 Depth=3
	ds_load_b64 v[50:51], v0
	v_add_co_u32 v12, vcc_lo, v12, v86
	v_add_co_ci_u32_e32 v13, vcc_lo, 0, v13, vcc_lo
	s_mov_b32 s35, exec_lo
	s_waitcnt lgkmcnt(0)
	s_delay_alu instid0(VALU_DEP_1)
	v_cmpx_lt_u64_e64 v[50:51], v[12:13]
	s_cbranch_execz .LBB4_549
; %bb.539:                              ;   in Loop: Header=BB4_483 Depth=3
	s_mov_b32 s37, 0
	s_mov_b32 s42, 0
                                        ; implicit-def: $sgpr40
                                        ; implicit-def: $sgpr41
	s_branch .LBB4_541
.LBB4_540:                              ;   in Loop: Header=BB4_541 Depth=4
	s_or_b32 exec_lo, exec_lo, s44
	s_delay_alu instid0(SALU_CYCLE_1) | instskip(NEXT) | instid1(SALU_CYCLE_1)
	s_and_b32 vcc_lo, exec_lo, vcc_lo
	s_or_b32 s37, vcc_lo, s37
	s_and_not1_b32 vcc_lo, s40, exec_lo
	s_and_b32 s40, s41, exec_lo
	s_delay_alu instid0(SALU_CYCLE_1)
	s_or_b32 s40, vcc_lo, s40
	s_and_not1_b32 exec_lo, exec_lo, s37
	s_cbranch_execz .LBB4_547
.LBB4_541:                              ;   Parent Loop BB4_55 Depth=1
                                        ;     Parent Loop BB4_312 Depth=2
                                        ;       Parent Loop BB4_483 Depth=3
                                        ; =>      This Inner Loop Header: Depth=4
	s_add_i32 s42, s42, 1
                                        ; implicit-def: $sgpr44
	s_delay_alu instid0(SALU_CYCLE_1) | instskip(SKIP_1) | instid1(SALU_CYCLE_1)
	s_cmpk_lg_i32 s42, 0x2710
	s_cselect_b32 s43, -1, 0
	s_and_b32 vcc_lo, exec_lo, s43
	s_cbranch_vccz .LBB4_545
.LBB4_542:                              ;   in Loop: Header=BB4_541 Depth=4
	s_and_not1_b32 s41, s41, exec_lo
	s_and_b32 s44, s44, exec_lo
	s_mov_b32 vcc_lo, -1
	s_or_b32 s41, s41, s44
	s_and_saveexec_b32 s44, s43
	s_cbranch_execz .LBB4_540
; %bb.543:                              ;   in Loop: Header=BB4_541 Depth=4
	s_sleep 1
	s_cbranch_execnz .LBB4_1709
; %bb.544:                              ;   in Loop: Header=BB4_541 Depth=4
	ds_load_b64 v[50:51], v0
	s_and_not1_b32 s41, s41, exec_lo
	s_waitcnt lgkmcnt(0)
	v_cmp_ge_u64_e32 vcc_lo, v[50:51], v[12:13]
	s_or_not1_b32 vcc_lo, vcc_lo, exec_lo
	s_branch .LBB4_540
.LBB4_545:                              ;   in Loop: Header=BB4_541 Depth=4
	s_cbranch_execnz .LBB4_1727
; %bb.546:                              ;   in Loop: Header=BB4_541 Depth=4
	ds_load_b64 v[50:51], v0
	s_and_not1_b32 s43, s43, exec_lo
	s_mov_b32 s42, 0
	s_mov_b32 s44, -1
	s_waitcnt lgkmcnt(0)
	s_waitcnt_vscnt null, 0x0
	flat_load_b32 v2, v[50:51] glc
	s_waitcnt vmcnt(0) lgkmcnt(0)
	buffer_gl1_inv
	buffer_gl0_inv
	v_cmp_eq_u32_e32 vcc_lo, 0, v2
	s_and_b32 vcc_lo, vcc_lo, exec_lo
	s_delay_alu instid0(SALU_CYCLE_1)
	s_or_b32 s43, s43, vcc_lo
	s_branch .LBB4_542
.LBB4_547:                              ;   in Loop: Header=BB4_483 Depth=3
	s_or_b32 exec_lo, exec_lo, s37
	s_and_saveexec_b32 vcc_lo, s40
	s_delay_alu instid0(SALU_CYCLE_1)
	s_xor_b32 vcc_lo, exec_lo, vcc_lo
	s_cbranch_execz .LBB4_549
; %bb.548:                              ;   in Loop: Header=BB4_483 Depth=3
	ds_store_b32 v0, v131
	s_cbranch_execnz .LBB4_1919
.LBB4_549:                              ;   in Loop: Header=BB4_483 Depth=3
	s_or_b32 exec_lo, exec_lo, s35
	;;#ASMSTART
	s_wakeup
	;;#ASMEND
.LBB4_550:                              ;   in Loop: Header=BB4_483 Depth=3
	s_or_b32 exec_lo, exec_lo, s19
.LBB4_551:                              ;   in Loop: Header=BB4_483 Depth=3
	s_and_not1_saveexec_b32 s4, s4
	s_cbranch_execz .LBB4_553
; %bb.552:                              ;   in Loop: Header=BB4_483 Depth=3
	;;#ASMSTART
	s_waitcnt lgkmcnt(0) vmcnt(0)
	;;#ASMEND
	s_waitcnt lgkmcnt(0)
	s_waitcnt_vscnt null, 0x0
	s_barrier
.LBB4_553:                              ;   in Loop: Header=BB4_483 Depth=3
	s_or_b32 exec_lo, exec_lo, s4
	v_and_b32_e32 v2, 16, v30
	s_mov_b32 s4, s3
.LBB4_554:                              ;   in Loop: Header=BB4_483 Depth=3
	s_and_not1_saveexec_b32 s3, s13
	s_cbranch_execz .LBB4_559
; %bb.555:                              ;   in Loop: Header=BB4_483 Depth=3
	s_cbranch_execnz .LBB4_1569
; %bb.556:                              ;   in Loop: Header=BB4_483 Depth=3
	ds_load_b32 v2, v0
	v_cmp_lt_i32_e32 vcc_lo, 0, v8
	s_waitcnt lgkmcnt(0)
	v_readfirstlane_b32 s13, v2
	v_and_b32_e32 v2, 16, v30
	s_delay_alu instid0(VALU_DEP_2) | instskip(NEXT) | instid1(VALU_DEP_1)
	s_cmp_eq_u32 s13, 0
	v_cmp_ne_u32_e64 s13, 0, v2
	s_cselect_b32 s19, -1, 0
	v_and_b32_e32 v2, 16, v30
	s_and_b32 s19, vcc_lo, s19
	s_delay_alu instid0(VALU_DEP_2) | instid1(SALU_CYCLE_1)
	s_and_b32 s19, s13, s19
	s_delay_alu instid0(SALU_CYCLE_1)
	s_and_saveexec_b32 s13, s19
	s_cbranch_execz .LBB4_558
; %bb.557:                              ;   in Loop: Header=BB4_483 Depth=3
	v_mov_b32_e32 v2, 1
	s_waitcnt_vscnt null, 0x0
	buffer_gl1_inv
	buffer_gl0_inv
.LBB4_558:                              ;   in Loop: Header=BB4_483 Depth=3
	s_or_b32 exec_lo, exec_lo, s13
.LBB4_559:                              ;   in Loop: Header=BB4_483 Depth=3
	s_delay_alu instid0(SALU_CYCLE_1) | instskip(SKIP_2) | instid1(SALU_CYCLE_1)
	s_or_b32 exec_lo, exec_lo, s3
	v_cmp_ne_u32_e32 vcc_lo, 0, v2
	s_xor_b32 s3, s10, -1
	s_and_b32 s13, vcc_lo, s3
	s_delay_alu instid0(SALU_CYCLE_1)
	s_and_saveexec_b32 s3, s13
	s_cbranch_execz .LBB4_561
; %bb.560:                              ;   in Loop: Header=BB4_483 Depth=3
	s_waitcnt lgkmcnt(0)
	s_waitcnt_vscnt null, 0x0
	flat_store_b32 v[26:27], v131
.LBB4_561:                              ;   in Loop: Header=BB4_483 Depth=3
	s_or_b32 exec_lo, exec_lo, s3
	v_and_b32_e32 v2, 48, v30
	s_mov_b32 s3, exec_lo
	s_delay_alu instid0(VALU_DEP_1)
	v_cmpx_ne_u32_e32 0, v2
	s_cbranch_execz .LBB4_563
; %bb.562:                              ;   in Loop: Header=BB4_483 Depth=3
	v_add_co_u32 v22, vcc_lo, v22, 2
	v_add_co_ci_u32_e32 v23, vcc_lo, 0, v23, vcc_lo
	s_waitcnt lgkmcnt(0)
	s_waitcnt_vscnt null, 0x0
	flat_store_b64 v[20:21], v[22:23]
.LBB4_563:                              ;   in Loop: Header=BB4_483 Depth=3
	s_or_b32 exec_lo, exec_lo, s3
	v_add_nc_u32_e32 v10, v8, v10
	s_mov_b32 s13, 0
	s_mov_b32 s35, s21
	;; [unrolled: 1-line block ×3, first 2 shown]
	s_and_not1_b32 exec_lo, exec_lo, s16
	s_cbranch_execnz .LBB4_483
; %bb.564:                              ;   in Loop: Header=BB4_312 Depth=2
	s_or_b32 exec_lo, exec_lo, s16
.LBB4_565:                              ;   in Loop: Header=BB4_312 Depth=2
	s_delay_alu instid0(SALU_CYCLE_1) | instskip(SKIP_1) | instid1(SALU_CYCLE_1)
	s_or_b32 exec_lo, exec_lo, s12
	s_add_i32 s15, s15, 1
	s_cmp_eq_u32 s15, s25
	s_cbranch_scc0 .LBB4_312
.LBB4_566:                              ;   in Loop: Header=BB4_55 Depth=1
	v_mul_lo_u32 v2, v37, s25
	v_mul_lo_u32 v10, v36, s27
	v_mad_u64_u32 v[8:9], null, v36, s25, 0
	v_mov_b32_e32 v52, 0
	s_mov_b32 s15, 0
	s_delay_alu instid0(VALU_DEP_2) | instskip(NEXT) | instid1(VALU_DEP_3)
	v_add3_u32 v9, v9, v10, v2
	v_sub_co_u32 v10, vcc_lo, v38, v8
	s_delay_alu instid0(VALU_DEP_2) | instskip(NEXT) | instid1(VALU_DEP_1)
	v_sub_co_ci_u32_e32 v11, vcc_lo, v39, v9, vcc_lo
	v_cmp_lt_i64_e32 vcc_lo, v[36:37], v[10:11]
	v_cndmask_b32_e32 v10, v10, v36, vcc_lo
	s_delay_alu instid0(VALU_DEP_1) | instskip(NEXT) | instid1(VALU_DEP_1)
	v_max_i32_e32 v132, 0, v10
	v_add_nc_u32_e32 v2, 31, v132
	s_delay_alu instid0(VALU_DEP_1) | instskip(NEXT) | instid1(VALU_DEP_1)
	v_lshrrev_b32_e32 v2, 1, v2
	v_and_b32_e32 v11, 0x3ffffff0, v2
	v_cmp_lt_i32_e32 vcc_lo, 0, v10
	v_mov_b32_e32 v2, 0
	s_delay_alu instid0(VALU_DEP_3) | instskip(SKIP_1) | instid1(SALU_CYCLE_1)
	v_max_i32_e32 v50, s31, v11
	s_and_b32 s12, s22, vcc_lo
	s_and_saveexec_b32 s3, s12
	s_cbranch_execz .LBB4_822
; %bb.567:                              ;   in Loop: Header=BB4_55 Depth=1
	v_add_co_u32 v8, vcc_lo, v8, v48
	v_add_co_ci_u32_e32 v9, vcc_lo, v9, v49, vcc_lo
	v_mov_b32_e32 v52, 0
	s_mov_b32 s13, 1
	s_mov_b32 s21, -1
	s_delay_alu instid0(VALU_DEP_2)
	v_lshlrev_b64 v[54:55], 3, v[8:9]
	v_writelane_b32 v42, s3, 3
.LBB4_568:                              ;   Parent Loop BB4_55 Depth=1
                                        ; =>  This Loop Header: Depth=2
                                        ;       Child Loop BB4_577 Depth 3
                                        ;       Child Loop BB4_609 Depth 3
	;; [unrolled: 1-line block ×5, first 2 shown]
                                        ;         Child Loop BB4_678 Depth 4
                                        ;       Child Loop BB4_694 Depth 3
                                        ;       Child Loop BB4_705 Depth 3
                                        ;         Child Loop BB4_706 Depth 4
                                        ;       Child Loop BB4_728 Depth 3
                                        ;       Child Loop BB4_739 Depth 3
	;; [unrolled: 1-line block ×6, first 2 shown]
	s_and_saveexec_b32 s3, s0
	s_cbranch_execz .LBB4_571
; %bb.569:                              ;   in Loop: Header=BB4_568 Depth=2
	s_cbranch_execnz .LBB4_1537
; %bb.570:                              ;   in Loop: Header=BB4_568 Depth=2
	ds_load_2addr_b64 v[8:11], v0 offset1:1
	ds_load_b64 v[64:65], v0
	v_ashrrev_i32_e32 v53, 31, v52
	s_mov_b32 s12, s13
	s_delay_alu instid0(VALU_DEP_1)
	v_lshlrev_b64 v[66:67], 3, v[52:53]
	s_waitcnt lgkmcnt(1)
	v_add_co_u32 v2, vcc_lo, v8, v54
	v_add_co_ci_u32_e32 v9, vcc_lo, v9, v55, vcc_lo
	v_add_co_u32 v10, vcc_lo, v10, v54
	v_add_co_ci_u32_e32 v11, vcc_lo, v11, v55, vcc_lo
	s_waitcnt lgkmcnt(0)
	v_add_co_u32 v51, vcc_lo, v64, v54
	v_add_co_ci_u32_e32 v53, vcc_lo, v65, v55, vcc_lo
	v_add_co_u32 v8, vcc_lo, v2, v66
	v_add_co_ci_u32_e32 v9, vcc_lo, v9, v67, vcc_lo
	s_delay_alu instid0(VALU_DEP_4) | instskip(NEXT) | instid1(VALU_DEP_4)
	v_add_co_u32 v2, vcc_lo, v51, v66
	v_add_co_ci_u32_e32 v51, vcc_lo, v53, v67, vcc_lo
	v_cmp_ne_u64_e32 vcc_lo, 0, v[64:65]
	v_add_co_u32 v10, s13, v10, v66
	s_delay_alu instid0(VALU_DEP_1)
	v_add_co_ci_u32_e64 v11, s13, v11, v67, s13
	s_mov_b32 s13, s12
	v_dual_cndmask_b32 v65, 0, v51 :: v_dual_cndmask_b32 v64, 0, v2
	ds_store_b64 v0, v[8:9]
	ds_store_b64 v0, v[10:11]
	ds_store_b64 v0, v[64:65]
.LBB4_571:                              ;   in Loop: Header=BB4_568 Depth=2
	s_or_b32 exec_lo, exec_lo, s3
	v_and_b32_e32 v2, 12, v30
	s_mov_b32 s17, -1
	s_mov_b32 s3, exec_lo
	s_delay_alu instid0(VALU_DEP_1)
	v_cmpx_ne_u32_e32 0, v2
	s_cbranch_execz .LBB4_585
; %bb.572:                              ;   in Loop: Header=BB4_568 Depth=2
	v_and_b32_e32 v2, 8, v30
	s_mov_b32 s12, s13
	s_mov_b32 s13, s21
	;; [unrolled: 1-line block ×3, first 2 shown]
	s_delay_alu instid0(VALU_DEP_1) | instskip(SKIP_3) | instid1(VALU_DEP_1)
	v_add_co_u32 v10, vcc_lo, v28, v2
	v_add_co_ci_u32_e32 v11, vcc_lo, 0, v29, vcc_lo
	v_add_co_u32 v8, vcc_lo, v22, 2
	v_add_co_ci_u32_e32 v9, vcc_lo, 0, v23, vcc_lo
	v_cmp_lt_u64_e32 vcc_lo, v[10:11], v[8:9]
	v_mov_b32_e32 v10, 1
	s_and_saveexec_b32 s17, vcc_lo
	s_cbranch_execz .LBB4_584
; %bb.573:                              ;   in Loop: Header=BB4_568 Depth=2
	v_mov_b32_e32 v10, 0
	s_mov_b32 s19, 0
                                        ; implicit-def: $sgpr21
	s_branch .LBB4_577
.LBB4_574:                              ;   in Loop: Header=BB4_577 Depth=3
	s_or_b32 exec_lo, exec_lo, s42
	v_mov_b32_e32 v11, 0
	s_or_not1_b32 s41, s41, exec_lo
.LBB4_575:                              ;   in Loop: Header=BB4_577 Depth=3
	s_or_b32 exec_lo, exec_lo, s40
	s_delay_alu instid0(VALU_DEP_1) | instskip(SKIP_2) | instid1(SALU_CYCLE_1)
	v_mov_b32_e32 v10, v11
	s_and_not1_b32 s21, s21, exec_lo
	s_and_b32 vcc_lo, s41, exec_lo
	s_or_b32 s21, s21, vcc_lo
.LBB4_576:                              ;   in Loop: Header=BB4_577 Depth=3
	s_or_b32 exec_lo, exec_lo, s37
	s_waitcnt vmcnt(0) lgkmcnt(0)
	v_add_co_u32 v64, vcc_lo, v28, v2
	v_add_co_ci_u32_e32 v65, vcc_lo, 0, v29, vcc_lo
	s_xor_b32 s37, s21, -1
	s_delay_alu instid0(VALU_DEP_1) | instskip(SKIP_1) | instid1(SALU_CYCLE_1)
	v_cmp_ge_u64_e32 vcc_lo, v[64:65], v[8:9]
	s_or_b32 vcc_lo, s37, vcc_lo
	s_and_b32 vcc_lo, exec_lo, vcc_lo
	s_delay_alu instid0(SALU_CYCLE_1) | instskip(NEXT) | instid1(SALU_CYCLE_1)
	s_or_b32 s19, vcc_lo, s19
	s_and_not1_b32 exec_lo, exec_lo, s19
	s_cbranch_execz .LBB4_583
.LBB4_577:                              ;   Parent Loop BB4_55 Depth=1
                                        ;     Parent Loop BB4_568 Depth=2
                                        ; =>    This Inner Loop Header: Depth=3
	s_sleep 1
	flat_load_b64 v[28:29], v[20:21] glc
	v_and_b32_e32 v11, 64, v30
	s_and_not1_b32 s21, s21, exec_lo
	s_mov_b32 s37, exec_lo
	s_delay_alu instid0(VALU_DEP_1)
	v_cmpx_eq_u32_e32 0, v11
	s_cbranch_execz .LBB4_576
; %bb.578:                              ;   in Loop: Header=BB4_577 Depth=3
	v_add_nc_u32_e32 v11, 1, v10
	s_mov_b32 s41, -1
	s_mov_b32 s40, exec_lo
	v_cmpx_lt_i32_e32 0x270e, v10
	s_cbranch_execz .LBB4_575
; %bb.579:                              ;   in Loop: Header=BB4_577 Depth=3
	s_cbranch_execnz .LBB4_1563
; %bb.580:                              ;   in Loop: Header=BB4_577 Depth=3
	ds_load_b64 v[10:11], v0
	s_mov_b32 s42, exec_lo
	s_waitcnt vmcnt(0) lgkmcnt(0)
	s_waitcnt_vscnt null, 0x0
	flat_load_b32 v10, v[10:11] glc
	s_waitcnt vmcnt(0) lgkmcnt(0)
	buffer_gl1_inv
	buffer_gl0_inv
	v_cmpx_ne_u32_e32 0, v10
	s_cbranch_execz .LBB4_574
; %bb.581:                              ;   in Loop: Header=BB4_577 Depth=3
	ds_store_b32 v0, v10
	s_cbranch_execnz .LBB4_1617
; %bb.582:                              ;   in Loop: Header=BB4_577 Depth=3
	v_or_b32_e32 v30, 64, v30
	s_xor_b32 s41, exec_lo, -1
	s_branch .LBB4_574
.LBB4_583:                              ;   in Loop: Header=BB4_568 Depth=2
	s_or_b32 exec_lo, exec_lo, s19
	v_and_b32_e32 v10, 12, v30
.LBB4_584:                              ;   in Loop: Header=BB4_568 Depth=2
	s_or_b32 exec_lo, exec_lo, s17
	s_delay_alu instid0(VALU_DEP_1)
	v_cmp_eq_u32_e32 vcc_lo, 0, v10
	s_mov_b32 s37, s16
	s_mov_b32 s21, s13
	;; [unrolled: 1-line block ×3, first 2 shown]
	;;#ASMSTART
	s_wakeup
	;;#ASMEND
	s_or_not1_b32 s17, vcc_lo, exec_lo
.LBB4_585:                              ;   in Loop: Header=BB4_568 Depth=2
	s_or_b32 exec_lo, exec_lo, s3
	v_sub_nc_u32_e32 v2, v132, v52
	s_xor_b32 s12, s17, -1
	s_delay_alu instid0(VALU_DEP_1)
	v_min_i32_e32 v50, v50, v2
	s_and_saveexec_b32 s3, s12
	s_cbranch_execz .LBB4_600
; %bb.586:                              ;   in Loop: Header=BB4_568 Depth=2
	v_and_b32_e32 v2, 0x108, v30
	s_mov_b32 s16, s4
	s_mov_b32 s19, s2
	;; [unrolled: 1-line block ×8, first 2 shown]
	s_mov_b32 s13, exec_lo
	v_cmpx_ne_u32_e32 0x108, v2
	s_xor_b32 s13, exec_lo, s13
                                        ; implicit-def: $vgpr8_vgpr9
; %bb.587:                              ;   in Loop: Header=BB4_568 Depth=2
	v_and_b32_e32 v8, 7, v22
; %bb.588:                              ;   in Loop: Header=BB4_568 Depth=2
	s_and_not1_saveexec_b32 s13, s13
	s_cbranch_execz .LBB4_590
; %bb.589:                              ;   in Loop: Header=BB4_568 Depth=2
	v_and_b32_e32 v8, 7, v22
	v_ashrrev_i32_e32 v51, 31, v50
	s_delay_alu instid0(VALU_DEP_2) | instskip(NEXT) | instid1(VALU_DEP_2)
	v_mad_u64_u32 v[9:10], null, v8, 24, v[6:7]
	v_lshlrev_b64 v[64:65], 3, v[50:51]
	flat_store_b64 v[9:10], v[64:65] offset:8
.LBB4_590:                              ;   in Loop: Header=BB4_568 Depth=2
	s_or_b32 exec_lo, exec_lo, s13
	v_and_b32_e32 v2, 0x100, v30
	s_mov_b32 s13, -1
	s_mov_b32 s14, exec_lo
                                        ; implicit-def: $vgpr9_vgpr10
	s_delay_alu instid0(VALU_DEP_1)
	v_cmpx_ne_u32_e32 0, v2
	s_cbranch_execz .LBB4_595
; %bb.591:                              ;   in Loop: Header=BB4_568 Depth=2
	v_mad_u64_u32 v[64:65], null, v8, 24, v[6:7]
	s_mov_b32 s21, exec_lo
	s_delay_alu instid0(VALU_DEP_1) | instskip(NEXT) | instid1(VALU_DEP_1)
	v_mov_b32_e32 v2, v65
	v_mad_u64_u32 v[9:10], null, v3, 24, v[2:3]
	s_delay_alu instid0(VALU_DEP_1)
	v_mov_b32_e32 v65, v9
                                        ; implicit-def: $vgpr9_vgpr10
	flat_load_b32 v2, v[64:65]
	s_waitcnt vmcnt(0) lgkmcnt(0)
	v_cmp_ne_u32_e32 vcc_lo, 1, v2
	v_cmpx_eq_u32_e32 1, v2
	s_cbranch_execz .LBB4_593
; %bb.592:                              ;   in Loop: Header=BB4_568 Depth=2
	flat_load_b32 v9, v[64:65] offset:4 glc
	s_waitcnt vmcnt(0) lgkmcnt(0)
	v_ashrrev_i32_e32 v10, 31, v9
	s_delay_alu instid0(VALU_DEP_1)
	v_lshrrev_b64 v[9:10], 3, v[9:10]
.LBB4_593:                              ;   in Loop: Header=BB4_568 Depth=2
	s_or_b32 exec_lo, exec_lo, s21
	s_delay_alu instid0(SALU_CYCLE_1)
	s_or_not1_b32 s13, vcc_lo, exec_lo
	s_or_b32 exec_lo, exec_lo, s14
	s_and_saveexec_b32 s14, s13
	s_cbranch_execnz .LBB4_596
.LBB4_594:                              ;   in Loop: Header=BB4_568 Depth=2
	s_or_b32 exec_lo, exec_lo, s14
	s_cbranch_execz .LBB4_597
	s_branch .LBB4_1557
.LBB4_595:                              ;   in Loop: Header=BB4_568 Depth=2
	s_or_b32 exec_lo, exec_lo, s14
	s_and_saveexec_b32 s14, s13
	s_cbranch_execz .LBB4_594
.LBB4_596:                              ;   in Loop: Header=BB4_568 Depth=2
	v_mul_lo_u32 v2, v3, v84
	v_mul_lo_u32 v11, v8, v85
	v_mad_u64_u32 v[9:10], null, v8, v84, 0
	s_delay_alu instid0(VALU_DEP_1)
	v_add3_u32 v10, v10, v11, v2
	s_or_b32 exec_lo, exec_lo, s14
	s_cbranch_execnz .LBB4_1557
.LBB4_597:                              ;   in Loop: Header=BB4_568 Depth=2
	s_delay_alu instid0(VALU_DEP_1) | instskip(SKIP_2) | instid1(VALU_DEP_2)
	v_lshlrev_b64 v[8:9], 3, v[9:10]
	v_and_b32_e32 v2, 0x2000, v30
	s_mov_b32 s13, exec_lo
	v_add_co_u32 v8, vcc_lo, v24, v8
	s_delay_alu instid0(VALU_DEP_3)
	v_add_co_ci_u32_e32 v9, vcc_lo, v25, v9, vcc_lo
	ds_store_b64 v0, v[8:9]
	v_cmpx_ne_u32_e32 0, v2
	s_cbranch_execz .LBB4_599
; %bb.598:                              ;   in Loop: Header=BB4_568 Depth=2
	ds_load_b64 v[8:9], v0 offset:584
	s_waitcnt lgkmcnt(0)
	v_add_co_u32 v8, vcc_lo, v8, 1
	v_add_co_ci_u32_e32 v9, vcc_lo, 0, v9, vcc_lo
	ds_store_b64 v0, v[8:9] offset:584
.LBB4_599:                              ;   in Loop: Header=BB4_568 Depth=2
	s_or_b32 exec_lo, exec_lo, s13
	v_add_co_u32 v22, vcc_lo, v22, 2
	v_add_co_ci_u32_e32 v23, vcc_lo, 0, v23, vcc_lo
	s_mov_b32 s14, s2
	s_mov_b32 s37, s10
	;; [unrolled: 1-line block ×8, first 2 shown]
.LBB4_600:                              ;   in Loop: Header=BB4_568 Depth=2
	v_writelane_b32 v42, s21, 4
	v_writelane_b32 v42, s13, 5
	;; [unrolled: 1-line block ×14, first 2 shown]
	s_or_b32 exec_lo, exec_lo, s3
	s_mov_b32 s3, s38
	s_and_saveexec_b32 s12, s38
	s_cbranch_execz .LBB4_622
; %bb.601:                              ;   in Loop: Header=BB4_568 Depth=2
	s_and_saveexec_b32 s13, s4
	s_delay_alu instid0(SALU_CYCLE_1)
	s_xor_b32 s13, exec_lo, s13
	s_cbranch_execz .LBB4_619
; %bb.602:                              ;   in Loop: Header=BB4_568 Depth=2
	s_and_saveexec_b32 s14, s1
	s_cbranch_execz .LBB4_618
; %bb.603:                              ;   in Loop: Header=BB4_568 Depth=2
	s_mov_b32 s16, exec_lo
	s_mov_b32 s15, exec_lo
	v_mbcnt_lo_u32_b32 v2, s16, 0
	s_waitcnt lgkmcnt(0)
	s_waitcnt_vscnt null, 0x0
	buffer_gl1_inv
	buffer_gl0_inv
	v_cmpx_eq_u32_e32 0, v2
	s_cbranch_execz .LBB4_605
; %bb.604:                              ;   in Loop: Header=BB4_568 Depth=2
	s_bcnt1_i32_b32 s16, s16
	s_delay_alu instid0(SALU_CYCLE_1)
	v_mov_b32_e32 v2, s16
	ds_add_u64 v0, v[2:3]
	s_cbranch_execnz .LBB4_1671
.LBB4_605:                              ;   in Loop: Header=BB4_568 Depth=2
	s_or_b32 exec_lo, exec_lo, s15
	s_cbranch_execnz .LBB4_1645
; %bb.606:                              ;   in Loop: Header=BB4_568 Depth=2
	ds_load_b64 v[8:9], v0
	v_add_co_u32 v12, vcc_lo, v12, v86
	v_add_co_ci_u32_e32 v13, vcc_lo, 0, v13, vcc_lo
	s_mov_b32 s15, exec_lo
	s_waitcnt lgkmcnt(0)
	s_delay_alu instid0(VALU_DEP_1)
	v_cmpx_lt_u64_e64 v[8:9], v[12:13]
	s_cbranch_execz .LBB4_617
; %bb.607:                              ;   in Loop: Header=BB4_568 Depth=2
	s_mov_b32 s16, 0
	s_mov_b32 s19, 0
                                        ; implicit-def: $sgpr17
                                        ; implicit-def: $sgpr18
	s_branch .LBB4_609
.LBB4_608:                              ;   in Loop: Header=BB4_609 Depth=3
	s_or_b32 exec_lo, exec_lo, s22
	s_delay_alu instid0(SALU_CYCLE_1) | instskip(NEXT) | instid1(SALU_CYCLE_1)
	s_and_b32 s20, exec_lo, s21
	s_or_b32 s16, s20, s16
	s_and_not1_b32 s17, s17, exec_lo
	s_and_b32 s20, s18, exec_lo
	s_delay_alu instid0(SALU_CYCLE_1)
	s_or_b32 s17, s17, s20
	s_and_not1_b32 exec_lo, exec_lo, s16
	s_cbranch_execz .LBB4_615
.LBB4_609:                              ;   Parent Loop BB4_55 Depth=1
                                        ;     Parent Loop BB4_568 Depth=2
                                        ; =>    This Inner Loop Header: Depth=3
	s_add_i32 s19, s19, 1
                                        ; implicit-def: $sgpr21
	s_delay_alu instid0(SALU_CYCLE_1) | instskip(SKIP_1) | instid1(SALU_CYCLE_1)
	s_cmpk_lg_i32 s19, 0x2710
	s_cselect_b32 s20, -1, 0
	s_and_b32 vcc_lo, exec_lo, s20
	s_cbranch_vccz .LBB4_613
.LBB4_610:                              ;   in Loop: Header=BB4_609 Depth=3
	s_and_not1_b32 s18, s18, exec_lo
	s_and_b32 s22, s21, exec_lo
	s_mov_b32 s21, -1
	s_or_b32 s18, s18, s22
	s_and_saveexec_b32 s22, s20
	s_cbranch_execz .LBB4_608
; %bb.611:                              ;   in Loop: Header=BB4_609 Depth=3
	s_sleep 1
	s_cbranch_execnz .LBB4_1719
; %bb.612:                              ;   in Loop: Header=BB4_609 Depth=3
	ds_load_b64 v[8:9], v0
	s_and_not1_b32 s18, s18, exec_lo
	s_waitcnt lgkmcnt(0)
	v_cmp_ge_u64_e32 vcc_lo, v[8:9], v[12:13]
	s_or_not1_b32 s21, vcc_lo, exec_lo
	s_branch .LBB4_608
.LBB4_613:                              ;   in Loop: Header=BB4_609 Depth=3
	s_cbranch_execnz .LBB4_1733
; %bb.614:                              ;   in Loop: Header=BB4_609 Depth=3
	ds_load_b64 v[8:9], v0
	s_and_not1_b32 s20, s20, exec_lo
	s_mov_b32 s19, 0
	s_mov_b32 s21, -1
	s_waitcnt lgkmcnt(0)
	flat_load_b32 v2, v[8:9] glc
	s_waitcnt vmcnt(0) lgkmcnt(0)
	buffer_gl1_inv
	buffer_gl0_inv
	v_cmp_eq_u32_e32 vcc_lo, 0, v2
	s_and_b32 s22, vcc_lo, exec_lo
	s_delay_alu instid0(SALU_CYCLE_1)
	s_or_b32 s20, s20, s22
	s_branch .LBB4_610
.LBB4_615:                              ;   in Loop: Header=BB4_568 Depth=2
	s_or_b32 exec_lo, exec_lo, s16
	s_and_saveexec_b32 s16, s17
	s_delay_alu instid0(SALU_CYCLE_1)
	s_xor_b32 s16, exec_lo, s16
	s_cbranch_execz .LBB4_617
; %bb.616:                              ;   in Loop: Header=BB4_568 Depth=2
	ds_store_b32 v0, v131
	s_cbranch_execnz .LBB4_1925
.LBB4_617:                              ;   in Loop: Header=BB4_568 Depth=2
	s_or_b32 exec_lo, exec_lo, s15
	;;#ASMSTART
	s_wakeup
	;;#ASMEND
.LBB4_618:                              ;   in Loop: Header=BB4_568 Depth=2
	s_or_b32 exec_lo, exec_lo, s14
.LBB4_619:                              ;   in Loop: Header=BB4_568 Depth=2
	s_and_not1_saveexec_b32 s13, s13
	s_cbranch_execz .LBB4_621
; %bb.620:                              ;   in Loop: Header=BB4_568 Depth=2
	s_waitcnt lgkmcnt(0)
	s_waitcnt_vscnt null, 0x0
	buffer_gl1_inv
	buffer_gl0_inv
	s_barrier
.LBB4_621:                              ;   in Loop: Header=BB4_568 Depth=2
	s_or_b32 exec_lo, exec_lo, s13
.LBB4_622:                              ;   in Loop: Header=BB4_568 Depth=2
	s_delay_alu instid0(SALU_CYCLE_1)
	s_or_b32 exec_lo, exec_lo, s12
	s_cbranch_execnz .LBB4_1543
; %bb.623:                              ;   in Loop: Header=BB4_568 Depth=2
	ds_load_b32 v8, v0
	v_and_b32_e32 v2, 0x4000, v30
	s_xor_b32 s12, s2, -1
	s_delay_alu instid0(VALU_DEP_1) | instskip(SKIP_1) | instid1(SALU_CYCLE_1)
	v_cmp_ne_u32_e32 vcc_lo, 0, v2
	s_and_b32 s13, s12, vcc_lo
	s_and_saveexec_b32 s12, s13
	s_cbranch_execz .LBB4_645
; %bb.624:                              ;   in Loop: Header=BB4_568 Depth=2
	s_and_saveexec_b32 s13, s4
	s_delay_alu instid0(SALU_CYCLE_1)
	s_xor_b32 s13, exec_lo, s13
	s_cbranch_execz .LBB4_642
; %bb.625:                              ;   in Loop: Header=BB4_568 Depth=2
	s_and_saveexec_b32 s14, s1
	s_cbranch_execz .LBB4_641
; %bb.626:                              ;   in Loop: Header=BB4_568 Depth=2
	s_mov_b32 s16, exec_lo
	s_mov_b32 s15, exec_lo
	v_mbcnt_lo_u32_b32 v2, s16, 0
	s_waitcnt lgkmcnt(0)
	s_waitcnt_vscnt null, 0x0
	buffer_gl1_inv
	buffer_gl0_inv
	v_cmpx_eq_u32_e32 0, v2
	s_cbranch_execz .LBB4_628
; %bb.627:                              ;   in Loop: Header=BB4_568 Depth=2
	s_bcnt1_i32_b32 s16, s16
	s_delay_alu instid0(SALU_CYCLE_1)
	v_mov_b32_e32 v2, s16
	ds_add_u64 v0, v[2:3]
	s_cbranch_execnz .LBB4_1711
.LBB4_628:                              ;   in Loop: Header=BB4_568 Depth=2
	s_or_b32 exec_lo, exec_lo, s15
	s_cbranch_execnz .LBB4_1681
; %bb.629:                              ;   in Loop: Header=BB4_568 Depth=2
	ds_load_b64 v[9:10], v0
	v_add_co_u32 v12, vcc_lo, v12, v86
	v_add_co_ci_u32_e32 v13, vcc_lo, 0, v13, vcc_lo
	s_mov_b32 s15, exec_lo
	s_waitcnt lgkmcnt(0)
	s_delay_alu instid0(VALU_DEP_1)
	v_cmpx_lt_u64_e64 v[9:10], v[12:13]
	s_cbranch_execz .LBB4_640
; %bb.630:                              ;   in Loop: Header=BB4_568 Depth=2
	s_mov_b32 s16, 0
	s_mov_b32 s19, 0
                                        ; implicit-def: $sgpr17
                                        ; implicit-def: $sgpr18
	s_branch .LBB4_632
.LBB4_631:                              ;   in Loop: Header=BB4_632 Depth=3
	s_or_b32 exec_lo, exec_lo, s22
	s_delay_alu instid0(SALU_CYCLE_1) | instskip(NEXT) | instid1(SALU_CYCLE_1)
	s_and_b32 s20, exec_lo, s21
	s_or_b32 s16, s20, s16
	s_and_not1_b32 s17, s17, exec_lo
	s_and_b32 s20, s18, exec_lo
	s_delay_alu instid0(SALU_CYCLE_1)
	s_or_b32 s17, s17, s20
	s_and_not1_b32 exec_lo, exec_lo, s16
	s_cbranch_execz .LBB4_638
.LBB4_632:                              ;   Parent Loop BB4_55 Depth=1
                                        ;     Parent Loop BB4_568 Depth=2
                                        ; =>    This Inner Loop Header: Depth=3
	s_add_i32 s19, s19, 1
                                        ; implicit-def: $sgpr21
	s_delay_alu instid0(SALU_CYCLE_1) | instskip(SKIP_1) | instid1(SALU_CYCLE_1)
	s_cmpk_lg_i32 s19, 0x2710
	s_cselect_b32 s20, -1, 0
	s_and_b32 vcc_lo, exec_lo, s20
	s_cbranch_vccz .LBB4_636
.LBB4_633:                              ;   in Loop: Header=BB4_632 Depth=3
	s_and_not1_b32 s18, s18, exec_lo
	s_and_b32 s22, s21, exec_lo
	s_mov_b32 s21, -1
	s_or_b32 s18, s18, s22
	s_and_saveexec_b32 s22, s20
	s_cbranch_execz .LBB4_631
; %bb.634:                              ;   in Loop: Header=BB4_632 Depth=3
	s_sleep 1
	s_cbranch_execnz .LBB4_1771
; %bb.635:                              ;   in Loop: Header=BB4_632 Depth=3
	ds_load_b64 v[9:10], v0
	s_and_not1_b32 s18, s18, exec_lo
	s_waitcnt lgkmcnt(0)
	v_cmp_ge_u64_e32 vcc_lo, v[9:10], v[12:13]
	s_or_not1_b32 s21, vcc_lo, exec_lo
	s_branch .LBB4_631
.LBB4_636:                              ;   in Loop: Header=BB4_632 Depth=3
	s_cbranch_execnz .LBB4_1787
; %bb.637:                              ;   in Loop: Header=BB4_632 Depth=3
	ds_load_b64 v[9:10], v0
	s_and_not1_b32 s20, s20, exec_lo
	s_mov_b32 s19, 0
	s_mov_b32 s21, -1
	s_waitcnt lgkmcnt(0)
	flat_load_b32 v2, v[9:10] glc
	s_waitcnt vmcnt(0) lgkmcnt(0)
	buffer_gl1_inv
	buffer_gl0_inv
	v_cmp_eq_u32_e32 vcc_lo, 0, v2
	s_and_b32 s22, vcc_lo, exec_lo
	s_delay_alu instid0(SALU_CYCLE_1)
	s_or_b32 s20, s20, s22
	s_branch .LBB4_633
.LBB4_638:                              ;   in Loop: Header=BB4_568 Depth=2
	s_or_b32 exec_lo, exec_lo, s16
	s_and_saveexec_b32 s16, s17
	s_delay_alu instid0(SALU_CYCLE_1)
	s_xor_b32 s16, exec_lo, s16
	s_cbranch_execz .LBB4_640
; %bb.639:                              ;   in Loop: Header=BB4_568 Depth=2
	ds_store_b32 v0, v131
	s_cbranch_execnz .LBB4_1949
.LBB4_640:                              ;   in Loop: Header=BB4_568 Depth=2
	s_or_b32 exec_lo, exec_lo, s15
	;;#ASMSTART
	s_wakeup
	;;#ASMEND
.LBB4_641:                              ;   in Loop: Header=BB4_568 Depth=2
	s_or_b32 exec_lo, exec_lo, s14
.LBB4_642:                              ;   in Loop: Header=BB4_568 Depth=2
	s_and_not1_saveexec_b32 s13, s13
	s_cbranch_execz .LBB4_644
; %bb.643:                              ;   in Loop: Header=BB4_568 Depth=2
	s_waitcnt lgkmcnt(0)
	s_waitcnt_vscnt null, 0x0
	buffer_gl1_inv
	buffer_gl0_inv
	s_barrier
.LBB4_644:                              ;   in Loop: Header=BB4_568 Depth=2
	s_or_b32 exec_lo, exec_lo, s13
.LBB4_645:                              ;   in Loop: Header=BB4_568 Depth=2
	s_delay_alu instid0(SALU_CYCLE_1)
	s_or_b32 exec_lo, exec_lo, s12
	s_cbranch_execnz .LBB4_1577
; %bb.646:                              ;   in Loop: Header=BB4_568 Depth=2
	ds_load_b64 v[9:10], v0
	v_mov_b32_e32 v51, 0
	s_waitcnt lgkmcnt(0)
	v_cmp_eq_u64_e32 vcc_lo, 0, v[9:10]
	s_or_b32 s12, vcc_lo, vcc_lo
	s_delay_alu instid0(SALU_CYCLE_1)
	s_and_b32 vcc_lo, exec_lo, s12
	s_cbranch_vccnz .LBB4_768
; %bb.647:                              ;   in Loop: Header=BB4_568 Depth=2
	v_cmp_eq_u32_e32 vcc_lo, 0, v8
	s_cbranch_execnz .LBB4_1637
; %bb.648:                              ;   in Loop: Header=BB4_568 Depth=2
	ds_load_b64 v[64:65], v0
	v_cndmask_b32_e32 v51, 0, v50, vcc_lo
	s_mov_b32 s12, -1
	s_delay_alu instid0(VALU_DEP_1)
	v_lshlrev_b32_e32 v53, 3, v51
	s_waitcnt lgkmcnt(0)
	v_cmp_ne_u64_e32 vcc_lo, 0, v[64:65]
	s_cbranch_vccz .LBB4_710
; %bb.649:                              ;   in Loop: Header=BB4_568 Depth=2
	s_mov_b32 s13, exec_lo
	v_readlane_b32 s14, v42, 0
	s_delay_alu instid0(VALU_DEP_1) | instskip(NEXT) | instid1(SALU_CYCLE_1)
	s_and_b32 s14, s13, s14
	s_mov_b32 exec_lo, s14
	s_cbranch_execz .LBB4_651
; %bb.650:                              ;   in Loop: Header=BB4_568 Depth=2
	ds_load_b32 v2, v0 offset:720
	s_waitcnt lgkmcnt(0)
	v_and_b32_e32 v2, 15, v2
	s_delay_alu instid0(VALU_DEP_1)
	v_cmp_eq_u32_e32 vcc_lo, 0, v2
	s_or_not1_b32 s12, vcc_lo, exec_lo
.LBB4_651:                              ;   in Loop: Header=BB4_568 Depth=2
	s_or_b32 exec_lo, exec_lo, s13
	s_delay_alu instid0(SALU_CYCLE_1) | instskip(SKIP_1) | instid1(VALU_DEP_1)
	s_mov_b32 s13, exec_lo
	v_readlane_b32 s14, v42, 0
	s_and_b32 s14, s13, s14
	s_delay_alu instid0(SALU_CYCLE_1)
	s_mov_b32 exec_lo, s14
	s_cbranch_execz .LBB4_653
; %bb.652:                              ;   in Loop: Header=BB4_568 Depth=2
	ds_load_b32 v2, v0 offset:784
	s_waitcnt lgkmcnt(0)
	v_and_b32_e32 v2, 15, v2
	s_delay_alu instid0(VALU_DEP_1) | instskip(SKIP_3) | instid1(SALU_CYCLE_1)
	v_cmp_eq_u32_e32 vcc_lo, 0, v2
	s_and_b32 s14, s12, vcc_lo
	s_and_not1_b32 s12, s12, exec_lo
	s_and_b32 s14, s14, exec_lo
	s_or_b32 s12, s12, s14
.LBB4_653:                              ;   in Loop: Header=BB4_568 Depth=2
	s_or_b32 exec_lo, exec_lo, s13
	s_xor_b32 s12, s12, -1
	s_mov_b32 s17, -1
	v_cndmask_b32_e64 v2, 0, 1, s12
	;;#ASMSTART
	;;#ASMEND
	s_delay_alu instid0(VALU_DEP_1)
	v_cmp_ne_u32_e32 vcc_lo, 0, v2
	s_cbranch_vccz .LBB4_655
; %bb.654:                              ;   in Loop: Header=BB4_568 Depth=2
	v_alignbit_b32 v2, v64, v64, 1
	s_mov_b32 s17, 0
	s_mov_b32 s22, -1
	s_delay_alu instid0(VALU_DEP_1) | instskip(SKIP_1) | instid1(VALU_DEP_2)
	v_readfirstlane_b32 s12, v2
	v_readfirstlane_b32 s30, v2
	s_and_b32 s16, s12, 0x7fffffff
	s_delay_alu instid0(SALU_CYCLE_1)
	s_mov_b32 s38, s16
	s_branch .LBB4_656
.LBB4_655:                              ;   in Loop: Header=BB4_568 Depth=2
	s_mov_b32 s22, 0
                                        ; implicit-def: $sgpr30
.LBB4_656:                              ;   in Loop: Header=BB4_568 Depth=2
	s_and_not1_b32 vcc_lo, exec_lo, s17
	s_cbranch_vccnz .LBB4_660
; %bb.657:                              ;   in Loop: Header=BB4_568 Depth=2
	v_alignbit_b32 v2, v64, v64, 1
	v_mov_b32_e32 v8, -1
	v_mov_b32_e32 v9, -1
	s_delay_alu instid0(VALU_DEP_3) | instskip(SKIP_1) | instid1(VALU_DEP_2)
	v_readfirstlane_b32 s12, v2
	v_readfirstlane_b32 s30, v2
	s_and_b32 s38, s12, 0x7fffffff
	s_delay_alu instid0(SALU_CYCLE_1)
	s_cmp_lt_i32 s38, 1
	s_cbranch_scc1 .LBB4_663
; %bb.658:                              ;   in Loop: Header=BB4_568 Depth=2
	s_cmp_lg_u32 s38, 1
	s_cbranch_scc1 .LBB4_661
; %bb.659:                              ;   in Loop: Header=BB4_568 Depth=2
	v_readlane_b32 s12, v42, 1
	v_readlane_b32 s13, v42, 2
	s_mov_b32 s14, s39
	s_mov_b64 s[16:17], 1
	s_delay_alu instid0(VALU_DEP_1)
	s_mov_b32 s15, s13
	v_writelane_b32 v42, s12, 1
	v_writelane_b32 v42, s13, 2
	s_branch .LBB4_662
.LBB4_660:                              ;   in Loop: Header=BB4_568 Depth=2
	v_dual_mov_b32 v81, s17 :: v_dual_mov_b32 v80, v53
	v_mov_b32_e32 v82, v96
	v_mov_b32_e32 v2, v87
	s_branch .LBB4_685
.LBB4_661:                              ;   in Loop: Header=BB4_568 Depth=2
	s_mov_b64 s[16:17], 3
	s_mov_b64 s[14:15], 0
.LBB4_662:                              ;   in Loop: Header=BB4_568 Depth=2
	v_cmp_lt_u64_e64 s12, s[16:17], s[38:39]
	s_or_b32 s13, s15, 2.0
	s_delay_alu instid0(VALU_DEP_1)
	s_and_b32 s12, s12, exec_lo
	s_cselect_b32 s12, 0, s38
	s_cselect_b32 s15, s15, s13
	s_cselect_b32 s13, 0, 0
	s_sub_u32 s12, s16, s12
	s_subb_u32 s13, s17, s13
	s_or_b32 s17, s15, 0x20000000
	s_lshl_b64 s[12:13], s[12:13], 1
	s_delay_alu instid0(SALU_CYCLE_1) | instskip(NEXT) | instid1(SALU_CYCLE_1)
	s_or_b32 s12, s12, 1
	v_cmp_lt_u64_e64 s16, s[12:13], s[38:39]
	s_delay_alu instid0(VALU_DEP_1)
	s_and_b32 s16, s16, exec_lo
	s_cselect_b32 s16, 0, s38
	s_cselect_b32 s15, s15, s17
	s_cselect_b32 s17, 0, 0
	s_sub_u32 s12, s12, s16
	s_subb_u32 s13, s13, s17
	s_or_b32 s17, s15, 0x10000000
	s_lshl_b64 s[12:13], s[12:13], 1
	s_delay_alu instid0(SALU_CYCLE_1) | instskip(NEXT) | instid1(SALU_CYCLE_1)
	s_or_b32 s12, s12, 1
	v_cmp_lt_u64_e64 s16, s[12:13], s[38:39]
	;; [unrolled: 12-line block ×29, first 2 shown]
	s_delay_alu instid0(VALU_DEP_1)
	s_and_b32 s16, s16, exec_lo
	s_cselect_b32 s16, 0, s38
	s_cselect_b32 s15, s15, s17
	;; [unrolled: 1-line block ×3, first 2 shown]
	s_sub_u32 s12, s12, s16
	s_subb_u32 s13, s13, s17
	s_delay_alu instid0(SALU_CYCLE_1) | instskip(SKIP_2) | instid1(SALU_CYCLE_1)
	s_lshl_b64 s[16:17], s[12:13], 1
	s_or_b32 s13, s15, 1
	s_or_b32 s16, s16, 1
	v_cmp_lt_u64_e64 s12, s[16:17], s[38:39]
	s_delay_alu instid0(VALU_DEP_1)
	s_and_b32 s12, s12, exec_lo
	s_cselect_b32 s12, s15, s13
	s_cselect_b32 s13, 0, s38
	;; [unrolled: 1-line block ×3, first 2 shown]
	s_sub_u32 s16, s16, s13
	s_subb_u32 s17, s17, s15
	s_or_b32 s15, s14, 0x80000000
	s_lshl_b64 s[16:17], s[16:17], 1
	v_mov_b32_e32 v9, s12
	s_or_b32 s16, s16, 1
	s_delay_alu instid0(SALU_CYCLE_1) | instskip(NEXT) | instid1(VALU_DEP_1)
	v_cmp_lt_u64_e64 s13, s[16:17], s[38:39]
	s_and_b32 s13, s13, exec_lo
	s_cselect_b32 s13, s14, s15
	s_cselect_b32 s14, 0, s38
	s_cselect_b32 s15, 0, 0
	s_sub_u32 s14, s16, s14
	s_subb_u32 s15, s17, s15
	s_or_b32 s17, s13, 2.0
	s_lshl_b64 s[14:15], s[14:15], 1
	s_delay_alu instid0(SALU_CYCLE_1) | instskip(NEXT) | instid1(SALU_CYCLE_1)
	s_or_b32 s14, s14, 1
	v_cmp_lt_u64_e64 s16, s[14:15], s[38:39]
	s_delay_alu instid0(VALU_DEP_1)
	s_and_b32 s16, s16, exec_lo
	s_cselect_b32 s16, 0, s38
	s_cselect_b32 s13, s13, s17
	s_cselect_b32 s17, 0, 0
	s_sub_u32 s14, s14, s16
	s_subb_u32 s15, s15, s17
	s_or_b32 s17, s13, 0x20000000
	s_lshl_b64 s[14:15], s[14:15], 1
	s_delay_alu instid0(SALU_CYCLE_1) | instskip(NEXT) | instid1(SALU_CYCLE_1)
	s_or_b32 s14, s14, 1
	v_cmp_lt_u64_e64 s16, s[14:15], s[38:39]
	s_delay_alu instid0(VALU_DEP_1)
	s_and_b32 s16, s16, exec_lo
	s_cselect_b32 s16, 0, s38
	s_cselect_b32 s13, s13, s17
	s_cselect_b32 s17, 0, 0
	s_sub_u32 s14, s14, s16
	s_subb_u32 s15, s15, s17
	s_or_b32 s17, s13, 0x10000000
	;; [unrolled: 12-line block ×29, first 2 shown]
	s_lshl_b64 s[14:15], s[14:15], 1
	s_delay_alu instid0(SALU_CYCLE_1) | instskip(NEXT) | instid1(SALU_CYCLE_1)
	s_or_b32 s14, s14, 1
	v_cmp_lt_u64_e64 s16, s[14:15], s[38:39]
	s_delay_alu instid0(VALU_DEP_1)
	s_and_b32 s16, s16, exec_lo
	s_cselect_b32 s16, 0, s38
	s_cselect_b32 s13, s13, s17
	;; [unrolled: 1-line block ×3, first 2 shown]
	s_sub_u32 s14, s14, s16
	s_subb_u32 s15, s15, s17
	s_delay_alu instid0(SALU_CYCLE_1) | instskip(NEXT) | instid1(SALU_CYCLE_1)
	s_lshl_b64 s[14:15], s[14:15], 1
	s_or_b32 s14, s14, 1
	s_delay_alu instid0(SALU_CYCLE_1) | instskip(NEXT) | instid1(VALU_DEP_1)
	v_cmp_ge_u64_e64 s14, s[14:15], s[38:39]
	v_cndmask_b32_e64 v2, 0, 1, s14
	s_delay_alu instid0(VALU_DEP_1)
	v_or_b32_e32 v8, s13, v2
.LBB4_663:                              ;   in Loop: Header=BB4_568 Depth=2
	v_ashrrev_i32_e32 v2, 31, v53
	s_mov_b32 s12, exec_lo
	s_delay_alu instid0(VALU_DEP_1) | instskip(NEXT) | instid1(VALU_DEP_1)
	v_lshrrev_b32_e32 v2, 22, v2
	v_add_nc_u32_e32 v2, v53, v2
	s_delay_alu instid0(VALU_DEP_1) | instskip(NEXT) | instid1(VALU_DEP_1)
	v_ashrrev_i32_e32 v80, 10, v2
	v_sub_nc_u32_e32 v83, v80, v87
	s_delay_alu instid0(VALU_DEP_1)
	v_cmpx_lt_i32_e32 0, v83
	s_cbranch_execz .LBB4_668
; %bb.664:                              ;   in Loop: Header=BB4_568 Depth=2
	s_cbranch_execnz .LBB4_1793
; %bb.665:                              ;   in Loop: Header=BB4_568 Depth=2
	ds_load_b128 v[65:68], v0
	s_cmp_lt_i32 s30, 0
	s_mov_b32 s20, 0
	s_cselect_b32 s21, -1, 0
	s_waitcnt lgkmcnt(0)
	v_add_co_u32 v10, vcc_lo, v65, v119
	v_add_co_ci_u32_e32 v11, vcc_lo, v66, v128, vcc_lo
	v_add_co_u32 v65, vcc_lo, v67, v119
	v_add_co_ci_u32_e32 v66, vcc_lo, v68, v128, vcc_lo
	s_delay_alu instid0(VALU_DEP_3) | instskip(NEXT) | instid1(VALU_DEP_2)
	v_dual_mov_b32 v68, v11 :: v_dual_mov_b32 v67, v10
	v_dual_mov_b32 v70, v66 :: v_dual_mov_b32 v69, v65
.LBB4_666:                              ;   Parent Loop BB4_55 Depth=1
                                        ;     Parent Loop BB4_568 Depth=2
                                        ; =>    This Inner Loop Header: Depth=3
	global_load_b128 v[144:147], v[65:66], off slc dlc
	s_clause 0x1
	global_load_b128 v[148:151], v[10:11], off slc dlc
	global_load_b128 v[160:163], v[10:11], off offset:512 slc dlc
	global_load_b128 v[164:167], v[65:66], off offset:512 slc dlc
	v_sub_nc_u32_e32 v83, v83, v86
	v_add_co_u32 v10, vcc_lo, v10, v129
	v_add_co_ci_u32_e32 v11, vcc_lo, v11, v130, vcc_lo
	v_add_co_u32 v65, vcc_lo, v65, v129
	v_add_co_ci_u32_e32 v66, vcc_lo, v66, v130, vcc_lo
	v_cmp_gt_i32_e32 vcc_lo, 1, v83
	s_waitcnt vmcnt(2)
	v_add_co_u32 v144, s13, v144, v148
	s_delay_alu instid0(VALU_DEP_1) | instskip(SKIP_1) | instid1(VALU_DEP_1)
	v_add_co_ci_u32_e64 v145, s13, v145, v149, s13
	v_add_co_u32 v146, s13, v146, v150
	v_add_co_ci_u32_e64 v147, s13, v147, v151, s13
	s_waitcnt vmcnt(0)
	v_add_co_u32 v148, s13, v164, v160
	s_delay_alu instid0(VALU_DEP_1)
	v_add_co_ci_u32_e64 v149, s13, v165, v161, s13
	v_add_co_u32 v150, s13, v166, v162
	v_sub_co_u32 v133, s15, 0, v146
	v_add_co_ci_u32_e64 v151, s13, v167, v163, s13
	v_sub_co_ci_u32_e64 v160, s15, 0, v147, s15
	v_cmp_gt_i64_e64 s13, 0, v[144:145]
	v_cmp_gt_i64_e64 s15, 0, v[148:149]
	v_sub_co_u32 v161, s16, 0, v148
	v_sub_co_u32 v2, s14, 0, v144
	v_sub_co_ci_u32_e64 v162, s16, 0, v149, s16
	s_and_b32 s13, s21, s13
	s_delay_alu instid0(VALU_DEP_4) | instskip(SKIP_1) | instid1(VALU_DEP_2)
	s_and_b32 s15, s21, s15
	v_sub_co_ci_u32_e64 v81, s14, 0, v145, s14
	v_cndmask_b32_e64 v162, v149, v162, s15
	v_cndmask_b32_e64 v149, v144, v2, s13
	v_cmp_gt_i64_e64 s14, 0, v[146:147]
	s_delay_alu instid0(VALU_DEP_4)
	v_cndmask_b32_e64 v165, v145, v81, s13
	v_cmp_gt_i64_e64 s16, 0, v[150:151]
	v_sub_co_u32 v163, s17, 0, v150
	v_mul_hi_u32 v2, v149, v8
	v_sub_co_ci_u32_e64 v164, s17, 0, v151, s17
	s_and_b32 s14, s21, s14
	s_delay_alu instid0(VALU_DEP_4) | instskip(SKIP_1) | instid1(VALU_DEP_2)
	s_and_b32 s16, s21, s16
	v_cndmask_b32_e64 v160, v147, v160, s14
	v_cndmask_b32_e64 v151, v151, v164, s16
	;; [unrolled: 1-line block ×3, first 2 shown]
	v_mad_u64_u32 v[144:145], null, v165, v8, v[2:3]
	v_mov_b32_e32 v135, v3
	v_mov_b32_e32 v82, v3
	v_cndmask_b32_e64 v150, v150, v163, s16
	v_cndmask_b32_e64 v161, v148, v161, s15
	s_or_b32 s20, vcc_lo, s20
	v_dual_mov_b32 v81, v145 :: v_dual_mov_b32 v2, v144
	s_delay_alu instid0(VALU_DEP_1) | instskip(NEXT) | instid1(VALU_DEP_2)
	v_mad_u64_u32 v[146:147], null, v165, v9, v[81:82]
	v_mad_u64_u32 v[144:145], null, v149, v9, v[2:3]
	v_mul_hi_u32 v2, v164, v8
	s_delay_alu instid0(VALU_DEP_2) | instskip(NEXT) | instid1(VALU_DEP_2)
	v_dual_mov_b32 v134, v3 :: v_dual_mov_b32 v133, v145
	v_mad_u64_u32 v[81:82], null, v160, v8, v[2:3]
	v_mov_b32_e32 v177, v3
	s_delay_alu instid0(VALU_DEP_3) | instskip(NEXT) | instid1(VALU_DEP_1)
	v_add_co_u32 v163, s17, v146, v133
	v_add_co_ci_u32_e64 v166, s17, 0, v147, s17
	s_delay_alu instid0(VALU_DEP_4) | instskip(NEXT) | instid1(VALU_DEP_1)
	v_mov_b32_e32 v2, v81
	v_mad_u64_u32 v[144:145], null, v164, v9, v[2:3]
	v_mov_b32_e32 v133, v82
	v_mad_u64_u32 v[81:82], null, v163, s38, 0
	v_mul_hi_u32 v2, v161, v8
	s_delay_alu instid0(VALU_DEP_4) | instskip(NEXT) | instid1(VALU_DEP_4)
	v_mov_b32_e32 v148, v145
	v_mad_u64_u32 v[146:147], null, v160, v9, v[133:134]
	s_delay_alu instid0(VALU_DEP_4) | instskip(NEXT) | instid1(VALU_DEP_4)
	v_mad_u64_u32 v[144:145], null, v166, s38, v[82:83]
	v_mad_u64_u32 v[133:134], null, v162, v8, v[2:3]
	s_delay_alu instid0(VALU_DEP_3) | instskip(NEXT) | instid1(VALU_DEP_3)
	v_add_co_u32 v167, s17, v146, v148
	v_mov_b32_e32 v82, v144
	v_add_co_ci_u32_e64 v178, s17, 0, v147, s17
	s_delay_alu instid0(VALU_DEP_3) | instskip(SKIP_3) | instid1(VALU_DEP_4)
	v_mad_u64_u32 v[144:145], null, v167, s38, 0
	v_mov_b32_e32 v2, v133
	v_sub_co_u32 v81, s17, v149, v81
	v_mad_u64_u32 v[148:149], null, v162, v9, v[134:135]
	v_mov_b32_e32 v133, v145
	v_sub_co_ci_u32_e64 v82, s17, v165, v82, s17
	s_delay_alu instid0(VALU_DEP_2) | instskip(NEXT) | instid1(VALU_DEP_2)
	v_mad_u64_u32 v[134:135], null, v178, s38, v[133:134]
	v_cmp_le_u64_e64 s17, s[38:39], v[81:82]
	s_delay_alu instid0(VALU_DEP_2) | instskip(SKIP_2) | instid1(VALU_DEP_4)
	v_mov_b32_e32 v179, v134
	v_mad_u64_u32 v[146:147], null, v161, v9, v[2:3]
	v_mul_hi_u32 v2, v150, v8
	v_cndmask_b32_e64 v145, 0, 1, s17
	s_delay_alu instid0(VALU_DEP_3) | instskip(NEXT) | instid1(VALU_DEP_2)
	v_mov_b32_e32 v146, v147
	v_add_co_u32 v163, s17, v163, v145
	s_delay_alu instid0(VALU_DEP_4) | instskip(SKIP_1) | instid1(VALU_DEP_4)
	v_mad_u64_u32 v[81:82], null, v151, v8, v[2:3]
	v_add_co_ci_u32_e64 v145, s17, 0, v166, s17
	v_add_co_u32 v148, s17, v148, v146
	s_delay_alu instid0(VALU_DEP_1) | instskip(SKIP_4) | instid1(VALU_DEP_3)
	v_add_co_ci_u32_e64 v149, s17, 0, v149, s17
	v_sub_co_u32 v165, s17, 0, v163
	v_mov_b32_e32 v2, v81
	v_sub_co_ci_u32_e64 v166, s17, 0, v145, s17
	v_sub_co_u32 v133, s17, v164, v144
	v_mad_u64_u32 v[134:135], null, v150, v9, v[2:3]
	s_delay_alu instid0(VALU_DEP_3) | instskip(SKIP_4) | instid1(VALU_DEP_3)
	v_cndmask_b32_e64 v145, v145, v166, s13
	v_cndmask_b32_e64 v144, v163, v165, s13
	v_sub_co_ci_u32_e64 v134, s13, v160, v179, s17
	v_mov_b32_e32 v176, v82
	v_mad_u64_u32 v[81:82], null, v148, s38, 0
	v_cmp_le_u64_e64 s13, s[38:39], v[133:134]
	s_delay_alu instid0(VALU_DEP_3) | instskip(NEXT) | instid1(VALU_DEP_3)
	v_mad_u64_u32 v[146:147], null, v151, v9, v[176:177]
	v_mov_b32_e32 v2, v82
	s_delay_alu instid0(VALU_DEP_3) | instskip(NEXT) | instid1(VALU_DEP_2)
	v_cndmask_b32_e64 v82, 0, 1, s13
	v_mad_u64_u32 v[133:134], null, v149, s38, v[2:3]
	s_delay_alu instid0(VALU_DEP_2) | instskip(NEXT) | instid1(VALU_DEP_1)
	v_add_co_u32 v2, s13, v167, v82
	v_add_co_ci_u32_e64 v82, s13, 0, v178, s13
	v_add_co_u32 v135, s13, v146, v135
	s_delay_alu instid0(VALU_DEP_1) | instskip(NEXT) | instid1(VALU_DEP_4)
	v_add_co_ci_u32_e64 v160, s13, 0, v147, s13
	v_sub_co_u32 v146, s13, 0, v2
	s_delay_alu instid0(VALU_DEP_1) | instskip(SKIP_2) | instid1(VALU_DEP_3)
	v_sub_co_ci_u32_e64 v147, s13, 0, v82, s13
	v_mov_b32_e32 v163, v133
	v_sub_co_u32 v81, s13, v161, v81
	v_cndmask_b32_e64 v147, v82, v147, s14
	v_mad_u64_u32 v[133:134], null, v135, s38, 0
	s_delay_alu instid0(VALU_DEP_4) | instskip(SKIP_1) | instid1(VALU_DEP_2)
	v_sub_co_ci_u32_e64 v82, s13, v162, v163, s13
	v_cndmask_b32_e64 v146, v2, v146, s14
	v_cmp_le_u64_e64 s13, s[38:39], v[81:82]
	s_delay_alu instid0(VALU_DEP_4) | instskip(NEXT) | instid1(VALU_DEP_2)
	v_mov_b32_e32 v2, v134
	v_cndmask_b32_e64 v134, 0, 1, s13
	s_delay_alu instid0(VALU_DEP_2) | instskip(NEXT) | instid1(VALU_DEP_2)
	v_mad_u64_u32 v[81:82], null, v160, s38, v[2:3]
	v_add_co_u32 v2, s13, v148, v134
	s_delay_alu instid0(VALU_DEP_1) | instskip(NEXT) | instid1(VALU_DEP_3)
	v_add_co_ci_u32_e64 v82, s13, 0, v149, s13
	v_mov_b32_e32 v161, v81
	s_delay_alu instid0(VALU_DEP_3) | instskip(NEXT) | instid1(VALU_DEP_1)
	v_sub_co_u32 v134, s13, 0, v2
	v_sub_co_ci_u32_e64 v148, s13, 0, v82, s13
	v_sub_co_u32 v81, s13, v150, v133
	s_delay_alu instid0(VALU_DEP_2) | instskip(SKIP_2) | instid1(VALU_DEP_2)
	v_cndmask_b32_e64 v149, v82, v148, s15
	v_sub_co_ci_u32_e64 v82, s13, v151, v161, s13
	v_cndmask_b32_e64 v148, v2, v134, s15
	v_cmp_le_u64_e64 s13, s[38:39], v[81:82]
	s_delay_alu instid0(VALU_DEP_1) | instskip(NEXT) | instid1(VALU_DEP_1)
	v_cndmask_b32_e64 v2, 0, 1, s13
	v_add_co_u32 v2, s13, v135, v2
	s_delay_alu instid0(VALU_DEP_1) | instskip(NEXT) | instid1(VALU_DEP_2)
	v_add_co_ci_u32_e64 v81, s13, 0, v160, s13
	v_sub_co_u32 v82, s13, 0, v2
	s_delay_alu instid0(VALU_DEP_1) | instskip(NEXT) | instid1(VALU_DEP_2)
	v_sub_co_ci_u32_e64 v133, s13, 0, v81, s13
	v_cndmask_b32_e64 v150, v2, v82, s16
	s_delay_alu instid0(VALU_DEP_2)
	v_cndmask_b32_e64 v151, v81, v133, s16
	s_clause 0x1
	global_store_b128 v[67:68], v[144:147], off glc slc dlc
	global_store_b128 v[67:68], v[148:151], off offset:512 glc slc dlc
	s_clause 0x1
	global_store_b128 v[69:70], v[144:147], off glc slc dlc
	global_store_b128 v[69:70], v[148:151], off offset:512 glc slc dlc
	v_add_co_u32 v67, s13, v67, v129
	s_delay_alu instid0(VALU_DEP_1) | instskip(SKIP_1) | instid1(VALU_DEP_1)
	v_add_co_ci_u32_e64 v68, s13, v68, v130, s13
	v_add_co_u32 v69, s13, v69, v129
	v_add_co_ci_u32_e64 v70, s13, v70, v130, s13
	s_and_not1_b32 exec_lo, exec_lo, s20
	s_cbranch_execnz .LBB4_666
; %bb.667:                              ;   in Loop: Header=BB4_568 Depth=2
	s_or_b32 exec_lo, exec_lo, s20
.LBB4_668:                              ;   in Loop: Header=BB4_568 Depth=2
	s_delay_alu instid0(SALU_CYCLE_1) | instskip(SKIP_2) | instid1(VALU_DEP_1)
	s_or_b32 exec_lo, exec_lo, s12
	v_lshlrev_b32_e32 v133, 10, v80
	s_mov_b32 s20, exec_lo
                                        ; implicit-def: $vgpr80
                                        ; implicit-def: $vgpr81
                                        ; implicit-def: $vgpr82
                                        ; implicit-def: $sgpr16_sgpr17
                                        ; implicit-def: $vgpr2
	v_cmpx_ne_u32_e64 v53, v133
	s_cbranch_execz .LBB4_684
; %bb.669:                              ;   in Loop: Header=BB4_568 Depth=2
	v_mov_b32_e32 v65, -1
	v_mov_b32_e32 v66, -1
	s_cmp_lt_i32 s38, 1
	s_cbranch_scc1 .LBB4_674
; %bb.670:                              ;   in Loop: Header=BB4_568 Depth=2
	s_cmp_lg_u32 s38, 1
	s_cbranch_scc1 .LBB4_672
; %bb.671:                              ;   in Loop: Header=BB4_568 Depth=2
	v_readlane_b32 s12, v42, 1
	v_readlane_b32 s13, v42, 2
	s_mov_b32 s14, s39
	s_mov_b64 s[16:17], 1
	s_delay_alu instid0(VALU_DEP_1)
	s_mov_b32 s15, s13
	v_writelane_b32 v42, s12, 1
	v_writelane_b32 v42, s13, 2
	s_branch .LBB4_673
.LBB4_672:                              ;   in Loop: Header=BB4_568 Depth=2
	s_mov_b64 s[16:17], 3
	s_mov_b64 s[14:15], 0
.LBB4_673:                              ;   in Loop: Header=BB4_568 Depth=2
	v_cmp_lt_u64_e64 s12, s[16:17], s[38:39]
	s_or_b32 s13, s15, 2.0
	s_delay_alu instid0(VALU_DEP_1)
	s_and_b32 s12, s12, exec_lo
	s_cselect_b32 s12, 0, s38
	s_cselect_b32 s15, s15, s13
	s_cselect_b32 s13, 0, 0
	s_sub_u32 s12, s16, s12
	s_subb_u32 s13, s17, s13
	s_or_b32 s17, s15, 0x20000000
	s_lshl_b64 s[12:13], s[12:13], 1
	s_delay_alu instid0(SALU_CYCLE_1) | instskip(NEXT) | instid1(SALU_CYCLE_1)
	s_or_b32 s12, s12, 1
	v_cmp_lt_u64_e64 s16, s[12:13], s[38:39]
	s_delay_alu instid0(VALU_DEP_1)
	s_and_b32 s16, s16, exec_lo
	s_cselect_b32 s16, 0, s38
	s_cselect_b32 s15, s15, s17
	s_cselect_b32 s17, 0, 0
	s_sub_u32 s12, s12, s16
	s_subb_u32 s13, s13, s17
	s_or_b32 s17, s15, 0x10000000
	s_lshl_b64 s[12:13], s[12:13], 1
	s_delay_alu instid0(SALU_CYCLE_1) | instskip(NEXT) | instid1(SALU_CYCLE_1)
	s_or_b32 s12, s12, 1
	v_cmp_lt_u64_e64 s16, s[12:13], s[38:39]
	;; [unrolled: 12-line block ×29, first 2 shown]
	s_delay_alu instid0(VALU_DEP_1)
	s_and_b32 s16, s16, exec_lo
	s_cselect_b32 s16, 0, s38
	s_cselect_b32 s15, s15, s17
	;; [unrolled: 1-line block ×3, first 2 shown]
	s_sub_u32 s12, s12, s16
	s_subb_u32 s13, s13, s17
	s_delay_alu instid0(SALU_CYCLE_1) | instskip(SKIP_2) | instid1(SALU_CYCLE_1)
	s_lshl_b64 s[16:17], s[12:13], 1
	s_or_b32 s13, s15, 1
	s_or_b32 s16, s16, 1
	v_cmp_lt_u64_e64 s12, s[16:17], s[38:39]
	s_delay_alu instid0(VALU_DEP_1)
	s_and_b32 s12, s12, exec_lo
	s_cselect_b32 s12, s15, s13
	s_cselect_b32 s13, 0, s38
	;; [unrolled: 1-line block ×3, first 2 shown]
	s_sub_u32 s16, s16, s13
	s_subb_u32 s17, s17, s15
	s_or_b32 s15, s14, 0x80000000
	s_lshl_b64 s[16:17], s[16:17], 1
	v_mov_b32_e32 v66, s12
	s_or_b32 s16, s16, 1
	s_delay_alu instid0(SALU_CYCLE_1) | instskip(NEXT) | instid1(VALU_DEP_1)
	v_cmp_lt_u64_e64 s13, s[16:17], s[38:39]
	s_and_b32 s13, s13, exec_lo
	s_cselect_b32 s13, s14, s15
	s_cselect_b32 s14, 0, s38
	s_cselect_b32 s15, 0, 0
	s_sub_u32 s14, s16, s14
	s_subb_u32 s15, s17, s15
	s_or_b32 s17, s13, 2.0
	s_lshl_b64 s[14:15], s[14:15], 1
	s_delay_alu instid0(SALU_CYCLE_1) | instskip(NEXT) | instid1(SALU_CYCLE_1)
	s_or_b32 s14, s14, 1
	v_cmp_lt_u64_e64 s16, s[14:15], s[38:39]
	s_delay_alu instid0(VALU_DEP_1)
	s_and_b32 s16, s16, exec_lo
	s_cselect_b32 s16, 0, s38
	s_cselect_b32 s13, s13, s17
	s_cselect_b32 s17, 0, 0
	s_sub_u32 s14, s14, s16
	s_subb_u32 s15, s15, s17
	s_or_b32 s17, s13, 0x20000000
	s_lshl_b64 s[14:15], s[14:15], 1
	s_delay_alu instid0(SALU_CYCLE_1) | instskip(NEXT) | instid1(SALU_CYCLE_1)
	s_or_b32 s14, s14, 1
	v_cmp_lt_u64_e64 s16, s[14:15], s[38:39]
	s_delay_alu instid0(VALU_DEP_1)
	s_and_b32 s16, s16, exec_lo
	s_cselect_b32 s16, 0, s38
	s_cselect_b32 s13, s13, s17
	s_cselect_b32 s17, 0, 0
	s_sub_u32 s14, s14, s16
	s_subb_u32 s15, s15, s17
	s_or_b32 s17, s13, 0x10000000
	;; [unrolled: 12-line block ×29, first 2 shown]
	s_lshl_b64 s[14:15], s[14:15], 1
	s_delay_alu instid0(SALU_CYCLE_1) | instskip(NEXT) | instid1(SALU_CYCLE_1)
	s_or_b32 s14, s14, 1
	v_cmp_lt_u64_e64 s16, s[14:15], s[38:39]
	s_delay_alu instid0(VALU_DEP_1)
	s_and_b32 s16, s16, exec_lo
	s_cselect_b32 s16, 0, s38
	s_cselect_b32 s13, s13, s17
	;; [unrolled: 1-line block ×3, first 2 shown]
	s_sub_u32 s14, s14, s16
	s_subb_u32 s15, s15, s17
	s_delay_alu instid0(SALU_CYCLE_1) | instskip(NEXT) | instid1(SALU_CYCLE_1)
	s_lshl_b64 s[14:15], s[14:15], 1
	s_or_b32 s14, s14, 1
	s_delay_alu instid0(SALU_CYCLE_1) | instskip(NEXT) | instid1(VALU_DEP_1)
	v_cmp_ge_u64_e64 s14, s[14:15], s[38:39]
	v_cndmask_b32_e64 v2, 0, 1, s14
	s_delay_alu instid0(VALU_DEP_1)
	v_or_b32_e32 v65, s13, v2
.LBB4_674:                              ;   in Loop: Header=BB4_568 Depth=2
	v_lshlrev_b32_e32 v2, 5, v83
	v_sub_nc_u32_e32 v9, v53, v133
	s_mov_b32 s12, exec_lo
	s_delay_alu instid0(VALU_DEP_2) | instskip(NEXT) | instid1(VALU_DEP_2)
	v_sub_nc_u32_e32 v2, v96, v2
	v_ashrrev_i32_e32 v10, 31, v9
	s_delay_alu instid0(VALU_DEP_2) | instskip(NEXT) | instid1(VALU_DEP_2)
	v_ashrrev_i32_e32 v8, 31, v2
	v_lshrrev_b32_e32 v10, 23, v10
	s_delay_alu instid0(VALU_DEP_2) | instskip(NEXT) | instid1(VALU_DEP_2)
	v_lshrrev_b32_e32 v8, 27, v8
	v_add_nc_u32_e32 v10, v9, v10
	s_delay_alu instid0(VALU_DEP_2) | instskip(NEXT) | instid1(VALU_DEP_2)
	v_add_nc_u32_e32 v8, v2, v8
	v_and_b32_e32 v134, 0xfffffe00, v10
	v_ashrrev_i32_e32 v10, 9, v10
	s_delay_alu instid0(VALU_DEP_3) | instskip(NEXT) | instid1(VALU_DEP_3)
	v_and_b32_e32 v11, 0xffffffe0, v8
	v_sub_nc_u32_e32 v144, v9, v134
	v_ashrrev_i32_e32 v8, 5, v8
	s_delay_alu instid0(VALU_DEP_3) | instskip(NEXT) | instid1(VALU_DEP_3)
	v_sub_nc_u32_e32 v135, v2, v11
	v_cmp_lt_i32_e64 s13, 15, v144
	s_delay_alu instid0(VALU_DEP_2) | instskip(NEXT) | instid1(VALU_DEP_2)
	v_lshlrev_b32_e32 v2, 4, v135
	v_add_co_ci_u32_e64 v10, vcc_lo, 0, v10, s13
	s_delay_alu instid0(VALU_DEP_2) | instskip(NEXT) | instid1(VALU_DEP_2)
	v_lshl_add_u32 v2, v8, 9, v2
	v_sub_nc_u32_e32 v145, v10, v8
	s_delay_alu instid0(VALU_DEP_2) | instskip(NEXT) | instid1(VALU_DEP_1)
	v_sub_nc_u32_e32 v146, v9, v2
	v_cmpx_lt_i32_e32 15, v146
	s_cbranch_execz .LBB4_681
; %bb.675:                              ;   in Loop: Header=BB4_568 Depth=2
	s_cbranch_execnz .LBB4_1853
; %bb.676:                              ;   in Loop: Header=BB4_568 Depth=2
	ds_load_b128 v[8:11], v0
	v_add_nc_u32_e32 v2, v2, v133
	s_cmp_lt_i32 s30, 0
	s_mov_b32 s16, 0
	s_cselect_b32 s17, -1, 0
	s_delay_alu instid0(VALU_DEP_1) | instskip(SKIP_2) | instid1(VALU_DEP_2)
	v_ashrrev_i32_e32 v70, 31, v2
	s_waitcnt lgkmcnt(0)
	v_add_co_u32 v67, vcc_lo, v8, v2
	v_add_co_ci_u32_e32 v68, vcc_lo, v9, v70, vcc_lo
	s_delay_alu instid0(VALU_DEP_1) | instskip(SKIP_2) | instid1(VALU_DEP_1)
	v_mov_b32_e32 v81, v68
	v_add_co_u32 v69, vcc_lo, v10, v2
	v_add_co_ci_u32_e32 v70, vcc_lo, v11, v70, vcc_lo
	v_dual_mov_b32 v80, v67 :: v_dual_mov_b32 v83, v70
	s_delay_alu instid0(VALU_DEP_3)
	v_mov_b32_e32 v82, v69
.LBB4_677:                              ;   Parent Loop BB4_55 Depth=1
                                        ;     Parent Loop BB4_568 Depth=2
                                        ; =>    This Loop Header: Depth=3
                                        ;         Child Loop BB4_678 Depth 4
	global_load_b128 v[8:11], v[80:81], off slc dlc
	global_load_b128 v[147:150], v[82:83], off slc dlc
	s_mov_b32 s18, -1
	v_mov_b32_e32 v161, v3
	s_waitcnt vmcnt(0)
	v_add_co_u32 v8, vcc_lo, v147, v8
	v_add_co_ci_u32_e32 v9, vcc_lo, v148, v9, vcc_lo
	s_delay_alu instid0(VALU_DEP_2) | instskip(NEXT) | instid1(VALU_DEP_2)
	v_sub_co_u32 v2, s14, 0, v8
	v_cmp_gt_i64_e32 vcc_lo, 0, v[8:9]
	v_sub_co_ci_u32_e64 v147, s14, 0, v9, s14
	s_and_b32 vcc_lo, s17, vcc_lo
	s_delay_alu instid0(VALU_DEP_1) | instskip(SKIP_1) | instid1(VALU_DEP_1)
	v_dual_cndmask_b32 v151, v9, v147 :: v_dual_cndmask_b32 v162, v8, v2
	v_add_co_u32 v8, s14, v149, v10
	v_add_co_ci_u32_e64 v9, s14, v150, v11, s14
	s_delay_alu instid0(VALU_DEP_3) | instskip(NEXT) | instid1(VALU_DEP_3)
	v_mul_hi_u32 v2, v162, v65
	v_sub_co_u32 v147, s15, 0, v8
	s_delay_alu instid0(VALU_DEP_3) | instskip(SKIP_1) | instid1(VALU_DEP_4)
	v_cmp_gt_i64_e64 s14, 0, v[8:9]
	v_mov_b32_e32 v150, v3
	v_mad_u64_u32 v[10:11], null, v151, v65, v[2:3]
	v_sub_co_ci_u32_e64 v2, s15, 0, v9, s15
	s_delay_alu instid0(VALU_DEP_4) | instskip(NEXT) | instid1(SALU_CYCLE_1)
	s_and_b32 s14, s17, s14
	v_cndmask_b32_e64 v164, v8, v147, s14
	s_delay_alu instid0(VALU_DEP_2) | instskip(NEXT) | instid1(VALU_DEP_4)
	v_cndmask_b32_e64 v163, v9, v2, s14
	v_mov_b32_e32 v2, v10
	s_delay_alu instid0(VALU_DEP_1) | instskip(NEXT) | instid1(VALU_DEP_4)
	v_mad_u64_u32 v[8:9], null, v162, v66, v[2:3]
	v_mul_hi_u32 v2, v164, v65
	s_delay_alu instid0(VALU_DEP_1) | instskip(NEXT) | instid1(VALU_DEP_1)
	v_mad_u64_u32 v[147:148], null, v163, v65, v[2:3]
	v_dual_mov_b32 v149, v11 :: v_dual_mov_b32 v160, v148
	s_delay_alu instid0(VALU_DEP_2) | instskip(NEXT) | instid1(VALU_DEP_2)
	v_mov_b32_e32 v2, v147
	v_mad_u64_u32 v[147:148], null, v151, v66, v[149:150]
	s_delay_alu instid0(VALU_DEP_2) | instskip(SKIP_2) | instid1(VALU_DEP_2)
	v_mad_u64_u32 v[10:11], null, v164, v66, v[2:3]
	v_mov_b32_e32 v2, v9
	v_mad_u64_u32 v[8:9], null, v163, v66, v[160:161]
	v_add_co_u32 v150, s15, v147, v2
	s_delay_alu instid0(VALU_DEP_4) | instskip(SKIP_1) | instid1(VALU_DEP_2)
	v_mov_b32_e32 v10, v11
	v_add_co_ci_u32_e64 v160, s15, 0, v148, s15
	v_add_co_u32 v161, s15, v8, v10
	s_delay_alu instid0(VALU_DEP_4) | instskip(SKIP_1) | instid1(VALU_DEP_3)
	v_mad_u64_u32 v[10:11], null, v150, s38, 0
	v_add_co_ci_u32_e64 v165, s15, 0, v9, s15
	v_mad_u64_u32 v[8:9], null, v161, s38, 0
	s_delay_alu instid0(VALU_DEP_3) | instskip(NEXT) | instid1(VALU_DEP_1)
	v_mov_b32_e32 v2, v11
	v_mad_u64_u32 v[147:148], null, v160, s38, v[2:3]
	s_delay_alu instid0(VALU_DEP_3) | instskip(SKIP_1) | instid1(VALU_DEP_2)
	v_mad_u64_u32 v[148:149], null, v165, s38, v[9:10]
	v_sub_co_u32 v9, s15, v162, v10
	v_dual_mov_b32 v2, v147 :: v_dual_mov_b32 v11, v148
	s_delay_alu instid0(VALU_DEP_1) | instskip(SKIP_1) | instid1(VALU_DEP_1)
	v_sub_co_ci_u32_e64 v10, s15, v151, v2, s15
	v_sub_co_u32 v147, s15, v164, v8
	v_sub_co_ci_u32_e64 v148, s15, v163, v11, s15
	s_delay_alu instid0(VALU_DEP_3) | instskip(NEXT) | instid1(VALU_DEP_1)
	v_cmp_le_u64_e64 s15, s[38:39], v[9:10]
	v_cndmask_b32_e64 v2, 0, 1, s15
	s_delay_alu instid0(VALU_DEP_3) | instskip(NEXT) | instid1(VALU_DEP_1)
	v_cmp_le_u64_e64 s15, s[38:39], v[147:148]
	v_cndmask_b32_e64 v8, 0, 1, s15
	s_delay_alu instid0(VALU_DEP_3) | instskip(NEXT) | instid1(VALU_DEP_1)
	v_add_co_u32 v2, s15, v150, v2
	v_add_co_ci_u32_e64 v9, s15, 0, v160, s15
	s_delay_alu instid0(VALU_DEP_3) | instskip(NEXT) | instid1(VALU_DEP_1)
	v_add_co_u32 v10, s15, v161, v8
	v_add_co_ci_u32_e64 v11, s15, 0, v165, s15
	s_delay_alu instid0(VALU_DEP_4) | instskip(NEXT) | instid1(VALU_DEP_1)
	v_sub_co_u32 v8, s15, 0, v2
	v_sub_co_ci_u32_e64 v147, s15, 0, v9, s15
	s_delay_alu instid0(VALU_DEP_4) | instskip(NEXT) | instid1(VALU_DEP_1)
	v_sub_co_u32 v148, s15, 0, v10
	v_sub_co_ci_u32_e64 v149, s15, 0, v11, s15
	s_delay_alu instid0(VALU_DEP_3) | instskip(NEXT) | instid1(VALU_DEP_3)
	v_dual_cndmask_b32 v9, v9, v147 :: v_dual_cndmask_b32 v8, v2, v8
	v_cndmask_b32_e64 v10, v10, v148, s14
	s_delay_alu instid0(VALU_DEP_3)
	v_cndmask_b32_e64 v11, v11, v149, s14
	s_mov_b64 s[14:15], 0
.LBB4_678:                              ;   Parent Loop BB4_55 Depth=1
                                        ;     Parent Loop BB4_568 Depth=2
                                        ;       Parent Loop BB4_677 Depth=3
                                        ; =>      This Inner Loop Header: Depth=4
	s_delay_alu instid0(SALU_CYCLE_1)
	s_cmp_eq_u32 s14, 0
	v_cndmask_b32_e64 v2, 0, 1, s18
	s_cselect_b32 vcc_lo, -1, 0
	s_cmp_eq_u32 s14, 1
	s_mov_b32 s18, 0
	s_cselect_b32 s14, -1, 0
	s_delay_alu instid0(SALU_CYCLE_1) | instskip(SKIP_1) | instid1(VALU_DEP_2)
	v_cndmask_b32_e64 v147, v67, v69, s14
	v_cndmask_b32_e64 v148, v68, v70, s14
	v_add_co_u32 v149, s15, 0x200, v147
	s_delay_alu instid0(VALU_DEP_1) | instskip(SKIP_1) | instid1(VALU_DEP_3)
	v_add_co_ci_u32_e64 v150, s15, 0, v148, s15
	v_cmp_ne_u32_e64 s15, 1, v2
	v_cndmask_b32_e64 v69, v69, v149, s14
	v_cndmask_b32_e32 v67, v67, v149, vcc_lo
	s_delay_alu instid0(VALU_DEP_4)
	v_cndmask_b32_e64 v70, v70, v150, s14
	v_cndmask_b32_e32 v68, v68, v150, vcc_lo
	s_and_b32 vcc_lo, exec_lo, s15
	s_mov_b64 s[14:15], 1
	global_store_b128 v[147:148], v[8:11], off glc slc dlc
	s_cbranch_vccz .LBB4_678
; %bb.679:                              ;   in Loop: Header=BB4_677 Depth=3
	v_add_co_u32 v80, vcc_lo, v80, v114
	v_add_co_ci_u32_e32 v81, vcc_lo, v81, v115, vcc_lo
	v_add_co_u32 v82, vcc_lo, v82, v114
	v_sub_nc_u32_e32 v146, v146, v98
	v_add_co_ci_u32_e32 v83, vcc_lo, v83, v115, vcc_lo
	v_add_co_u32 v67, vcc_lo, v67, v100
	v_add_co_ci_u32_e32 v68, vcc_lo, v68, v112, vcc_lo
	s_delay_alu instid0(VALU_DEP_4) | instskip(SKIP_1) | instid1(VALU_DEP_1)
	v_cmp_gt_i32_e32 vcc_lo, 16, v146
	v_add_co_u32 v69, s14, v69, v100
	v_add_co_ci_u32_e64 v70, s14, v70, v112, s14
	v_sub_nc_u32_e32 v145, v145, v86
	s_or_b32 s16, vcc_lo, s16
	s_delay_alu instid0(SALU_CYCLE_1)
	s_and_not1_b32 exec_lo, exec_lo, s16
	s_cbranch_execnz .LBB4_677
; %bb.680:                              ;   in Loop: Header=BB4_568 Depth=2
	s_or_b32 exec_lo, exec_lo, s16
.LBB4_681:                              ;   in Loop: Header=BB4_568 Depth=2
	s_delay_alu instid0(SALU_CYCLE_1) | instskip(SKIP_3) | instid1(VALU_DEP_1)
	s_or_b32 exec_lo, exec_lo, s12
	v_and_b32_e32 v8, 8, v53
	s_mov_b32 s12, s22
	s_mov_b32 s14, exec_lo
                                        ; implicit-def: $vgpr81
                                        ; implicit-def: $vgpr82
                                        ; implicit-def: $vgpr2
	v_cndmask_b32_e64 v80, v144, v8, s13
	s_delay_alu instid0(VALU_DEP_1)
	v_cmpx_ne_u32_e32 0, v80
	s_cbranch_execz .LBB4_683
; %bb.682:                              ;   in Loop: Header=BB4_568 Depth=2
	v_cmp_lt_i32_e32 vcc_lo, 0, v145
	v_sub_nc_u32_e32 v8, v144, v8
	s_or_b32 s12, s22, exec_lo
	v_cndmask_b32_e32 v2, 0, v86, vcc_lo
	s_delay_alu instid0(VALU_DEP_2) | instskip(NEXT) | instid1(VALU_DEP_2)
	v_cndmask_b32_e64 v8, 0, v8, s13
	v_sub_nc_u32_e32 v2, v2, v145
	s_delay_alu instid0(VALU_DEP_2) | instskip(NEXT) | instid1(VALU_DEP_2)
	v_add3_u32 v81, v134, v133, v8
	v_lshl_add_u32 v9, v2, 5, v135
	s_delay_alu instid0(VALU_DEP_1) | instskip(NEXT) | instid1(VALU_DEP_1)
	v_ashrrev_i32_e32 v2, 31, v9
	v_lshrrev_b32_e32 v2, 27, v2
	s_delay_alu instid0(VALU_DEP_1) | instskip(NEXT) | instid1(VALU_DEP_1)
	v_add_nc_u32_e32 v2, v9, v2
	v_and_b32_e32 v10, 0xffffffe0, v2
	v_ashrrev_i32_e32 v2, 5, v2
	s_delay_alu instid0(VALU_DEP_2)
	v_sub_nc_u32_e32 v82, v9, v10
.LBB4_683:                              ;   in Loop: Header=BB4_568 Depth=2
	s_or_b32 exec_lo, exec_lo, s14
	s_delay_alu instid0(SALU_CYCLE_1)
	s_and_not1_b32 s13, s22, exec_lo
	s_and_b32 s12, s12, exec_lo
	s_mov_b64 s[16:17], s[38:39]
	s_or_b32 s22, s13, s12
.LBB4_684:                              ;   in Loop: Header=BB4_568 Depth=2
	s_or_b32 exec_lo, exec_lo, s20
.LBB4_685:                              ;   in Loop: Header=BB4_568 Depth=2
	s_and_saveexec_b32 s31, s22
	s_cbranch_execz .LBB4_709
; %bb.686:                              ;   in Loop: Header=BB4_568 Depth=2
	v_mov_b32_e32 v8, -1
	v_mov_b32_e32 v9, -1
	s_cmp_lt_i32 s38, 1
	s_cbranch_scc1 .LBB4_691
; %bb.687:                              ;   in Loop: Header=BB4_568 Depth=2
	s_cmp_lg_u32 s38, 1
	s_cbranch_scc1 .LBB4_689
; %bb.688:                              ;   in Loop: Header=BB4_568 Depth=2
	v_readlane_b32 s12, v42, 1
	v_readlane_b32 s13, v42, 2
	s_mov_b32 s14, s39
	s_mov_b64 s[22:23], 1
	s_delay_alu instid0(VALU_DEP_1)
	s_mov_b32 s15, s13
	v_writelane_b32 v42, s12, 1
	v_writelane_b32 v42, s13, 2
	s_branch .LBB4_690
.LBB4_689:                              ;   in Loop: Header=BB4_568 Depth=2
	s_mov_b64 s[22:23], 3
	s_mov_b64 s[14:15], 0
.LBB4_690:                              ;   in Loop: Header=BB4_568 Depth=2
	v_cmp_lt_u64_e64 s12, s[22:23], s[16:17]
	s_or_b32 s13, s15, 2.0
	s_delay_alu instid0(VALU_DEP_1)
	s_and_b32 s12, s12, exec_lo
	s_cselect_b32 s12, 0, s16
	s_cselect_b32 s15, s15, s13
	s_cselect_b32 s13, 0, s17
	s_sub_u32 s12, s22, s12
	s_subb_u32 s13, s23, s13
	s_or_b32 s19, s15, 0x20000000
	s_lshl_b64 s[12:13], s[12:13], 1
	s_delay_alu instid0(SALU_CYCLE_1) | instskip(NEXT) | instid1(SALU_CYCLE_1)
	s_or_b32 s12, s12, 1
	v_cmp_lt_u64_e64 s18, s[12:13], s[16:17]
	s_delay_alu instid0(VALU_DEP_1)
	s_and_b32 s18, s18, exec_lo
	s_cselect_b32 s18, 0, s16
	s_cselect_b32 s15, s15, s19
	s_cselect_b32 s19, 0, s17
	s_sub_u32 s12, s12, s18
	s_subb_u32 s13, s13, s19
	s_or_b32 s19, s15, 0x10000000
	s_lshl_b64 s[12:13], s[12:13], 1
	s_delay_alu instid0(SALU_CYCLE_1) | instskip(NEXT) | instid1(SALU_CYCLE_1)
	s_or_b32 s12, s12, 1
	v_cmp_lt_u64_e64 s18, s[12:13], s[16:17]
	;; [unrolled: 12-line block ×29, first 2 shown]
	s_delay_alu instid0(VALU_DEP_1)
	s_and_b32 s18, s18, exec_lo
	s_cselect_b32 s18, 0, s16
	s_cselect_b32 s15, s15, s19
	;; [unrolled: 1-line block ×3, first 2 shown]
	s_sub_u32 s12, s12, s18
	s_subb_u32 s13, s13, s19
	s_delay_alu instid0(SALU_CYCLE_1) | instskip(SKIP_2) | instid1(SALU_CYCLE_1)
	s_lshl_b64 s[18:19], s[12:13], 1
	s_or_b32 s13, s15, 1
	s_or_b32 s18, s18, 1
	v_cmp_lt_u64_e64 s12, s[18:19], s[16:17]
	s_delay_alu instid0(VALU_DEP_1)
	s_and_b32 s12, s12, exec_lo
	s_cselect_b32 s12, s15, s13
	s_cselect_b32 s13, 0, s16
	;; [unrolled: 1-line block ×3, first 2 shown]
	s_sub_u32 s18, s18, s13
	s_subb_u32 s19, s19, s15
	s_or_b32 s15, s14, 0x80000000
	s_lshl_b64 s[18:19], s[18:19], 1
	v_mov_b32_e32 v9, s12
	s_or_b32 s18, s18, 1
	s_delay_alu instid0(SALU_CYCLE_1) | instskip(NEXT) | instid1(VALU_DEP_1)
	v_cmp_lt_u64_e64 s13, s[18:19], s[16:17]
	s_and_b32 s13, s13, exec_lo
	s_cselect_b32 s13, s14, s15
	s_cselect_b32 s14, 0, s16
	;; [unrolled: 1-line block ×3, first 2 shown]
	s_sub_u32 s14, s18, s14
	s_subb_u32 s15, s19, s15
	s_or_b32 s19, s13, 2.0
	s_lshl_b64 s[14:15], s[14:15], 1
	s_delay_alu instid0(SALU_CYCLE_1) | instskip(NEXT) | instid1(SALU_CYCLE_1)
	s_or_b32 s14, s14, 1
	v_cmp_lt_u64_e64 s18, s[14:15], s[16:17]
	s_delay_alu instid0(VALU_DEP_1)
	s_and_b32 s18, s18, exec_lo
	s_cselect_b32 s18, 0, s16
	s_cselect_b32 s13, s13, s19
	s_cselect_b32 s19, 0, s17
	s_sub_u32 s14, s14, s18
	s_subb_u32 s15, s15, s19
	s_or_b32 s19, s13, 0x20000000
	s_lshl_b64 s[14:15], s[14:15], 1
	s_delay_alu instid0(SALU_CYCLE_1) | instskip(NEXT) | instid1(SALU_CYCLE_1)
	s_or_b32 s14, s14, 1
	v_cmp_lt_u64_e64 s18, s[14:15], s[16:17]
	s_delay_alu instid0(VALU_DEP_1)
	s_and_b32 s18, s18, exec_lo
	s_cselect_b32 s18, 0, s16
	s_cselect_b32 s13, s13, s19
	s_cselect_b32 s19, 0, s17
	s_sub_u32 s14, s14, s18
	s_subb_u32 s15, s15, s19
	s_or_b32 s19, s13, 0x10000000
	;; [unrolled: 12-line block ×29, first 2 shown]
	s_lshl_b64 s[14:15], s[14:15], 1
	s_delay_alu instid0(SALU_CYCLE_1) | instskip(NEXT) | instid1(SALU_CYCLE_1)
	s_or_b32 s14, s14, 1
	v_cmp_lt_u64_e64 s18, s[14:15], s[16:17]
	s_delay_alu instid0(VALU_DEP_1)
	s_and_b32 s18, s18, exec_lo
	s_cselect_b32 s18, 0, s16
	s_cselect_b32 s13, s13, s19
	;; [unrolled: 1-line block ×3, first 2 shown]
	s_sub_u32 s14, s14, s18
	s_subb_u32 s15, s15, s19
	s_delay_alu instid0(SALU_CYCLE_1) | instskip(NEXT) | instid1(SALU_CYCLE_1)
	s_lshl_b64 s[14:15], s[14:15], 1
	s_or_b32 s14, s14, 1
	s_delay_alu instid0(SALU_CYCLE_1) | instskip(NEXT) | instid1(VALU_DEP_1)
	v_cmp_ge_u64_e64 s14, s[14:15], s[16:17]
	v_cndmask_b32_e64 v8, 0, 1, s14
	s_delay_alu instid0(VALU_DEP_1)
	v_or_b32_e32 v8, s13, v8
.LBB4_691:                              ;   in Loop: Header=BB4_568 Depth=2
	v_ashrrev_i32_e32 v10, 31, v80
	s_mov_b32 s12, exec_lo
	s_delay_alu instid0(VALU_DEP_1) | instskip(NEXT) | instid1(VALU_DEP_1)
	v_lshrrev_b32_e32 v10, 23, v10
	v_add_nc_u32_e32 v10, v80, v10
	s_delay_alu instid0(VALU_DEP_1) | instskip(NEXT) | instid1(VALU_DEP_1)
	v_ashrrev_i32_e32 v133, 9, v10
	v_sub_nc_u32_e32 v83, v133, v2
	s_delay_alu instid0(VALU_DEP_1)
	v_cmpx_lt_i32_e32 0, v83
	s_cbranch_execz .LBB4_696
; %bb.692:                              ;   in Loop: Header=BB4_568 Depth=2
	s_cbranch_execnz .LBB4_1805
; %bb.693:                              ;   in Loop: Header=BB4_568 Depth=2
	ds_load_b128 v[65:68], v0
	v_lshlrev_b32_e32 v2, 9, v2
	v_lshlrev_b32_e32 v10, 3, v82
	s_cmp_lt_i32 s30, 0
	s_mov_b32 s20, 0
	s_cselect_b32 s21, -1, 0
	s_delay_alu instid0(VALU_DEP_1) | instskip(NEXT) | instid1(VALU_DEP_1)
	v_add3_u32 v2, v81, v10, v2
	v_ashrrev_i32_e32 v69, 31, v2
	s_waitcnt lgkmcnt(0)
	v_add_co_u32 v10, vcc_lo, v65, v2
	s_delay_alu instid0(VALU_DEP_2) | instskip(SKIP_2) | instid1(VALU_DEP_3)
	v_add_co_ci_u32_e32 v11, vcc_lo, v66, v69, vcc_lo
	v_add_co_u32 v65, vcc_lo, v67, v2
	v_add_co_ci_u32_e32 v66, vcc_lo, v68, v69, vcc_lo
	v_dual_mov_b32 v68, v11 :: v_dual_mov_b32 v67, v10
	s_delay_alu instid0(VALU_DEP_2)
	v_dual_mov_b32 v70, v66 :: v_dual_mov_b32 v69, v65
.LBB4_694:                              ;   Parent Loop BB4_55 Depth=1
                                        ;     Parent Loop BB4_568 Depth=2
                                        ; =>    This Inner Loop Header: Depth=3
	flat_load_b64 v[134:135], v[65:66] slc dlc
	s_clause 0x1
	flat_load_b64 v[144:145], v[10:11] slc dlc
	flat_load_b64 v[146:147], v[10:11] offset:256 slc dlc
	flat_load_b64 v[148:149], v[65:66] offset:256 slc dlc
	v_mov_b32_e32 v150, v3
	v_add_co_u32 v10, vcc_lo, v10, v114
	v_sub_nc_u32_e32 v83, v83, v86
	v_add_co_ci_u32_e32 v11, vcc_lo, v11, v115, vcc_lo
	v_add_co_u32 v65, vcc_lo, v65, v114
	v_add_co_ci_u32_e32 v66, vcc_lo, v66, v115, vcc_lo
	s_delay_alu instid0(VALU_DEP_4) | instskip(SKIP_2) | instid1(VALU_DEP_1)
	v_cmp_gt_i32_e32 vcc_lo, 1, v83
	s_waitcnt vmcnt(2) lgkmcnt(2)
	v_add_co_u32 v134, s13, v134, v144
	v_add_co_ci_u32_e64 v135, s13, v135, v145, s13
	s_waitcnt vmcnt(0) lgkmcnt(0)
	v_add_co_u32 v144, s13, v148, v146
	s_delay_alu instid0(VALU_DEP_1) | instskip(NEXT) | instid1(VALU_DEP_3)
	v_add_co_ci_u32_e64 v145, s13, v149, v147, s13
	v_cmp_gt_i64_e64 s13, 0, v[134:135]
	v_sub_co_u32 v2, s14, 0, v134
	s_delay_alu instid0(VALU_DEP_1) | instskip(NEXT) | instid1(VALU_DEP_4)
	v_sub_co_ci_u32_e64 v146, s14, 0, v135, s14
	v_cmp_gt_i64_e64 s14, 0, v[144:145]
	s_delay_alu instid0(VALU_DEP_4) | instskip(SKIP_3) | instid1(VALU_DEP_4)
	s_and_b32 s13, s21, s13
	v_sub_co_u32 v147, s15, 0, v144
	v_cndmask_b32_e64 v161, v134, v2, s13
	v_cndmask_b32_e64 v160, v135, v146, s13
	s_and_b32 s14, s21, s14
	v_sub_co_ci_u32_e64 v148, s15, 0, v145, s15
	s_delay_alu instid0(VALU_DEP_3) | instskip(SKIP_2) | instid1(VALU_DEP_3)
	v_mul_hi_u32 v2, v161, v8
	v_cndmask_b32_e64 v162, v144, v147, s14
	s_or_b32 s20, vcc_lo, s20
	v_cndmask_b32_e64 v148, v145, v148, s14
	s_delay_alu instid0(VALU_DEP_3) | instskip(NEXT) | instid1(VALU_DEP_1)
	v_mad_u64_u32 v[134:135], null, v160, v8, v[2:3]
	v_dual_mov_b32 v151, v3 :: v_dual_mov_b32 v2, v134
	s_delay_alu instid0(VALU_DEP_2) | instskip(NEXT) | instid1(VALU_DEP_2)
	v_mov_b32_e32 v149, v135
	v_mad_u64_u32 v[134:135], null, v161, v9, v[2:3]
	v_mul_hi_u32 v2, v162, v8
	s_delay_alu instid0(VALU_DEP_2) | instskip(NEXT) | instid1(VALU_DEP_2)
	v_mov_b32_e32 v146, v135
	v_mad_u64_u32 v[134:135], null, v148, v8, v[2:3]
	s_delay_alu instid0(VALU_DEP_1) | instskip(SKIP_1) | instid1(VALU_DEP_3)
	v_mov_b32_e32 v2, v134
	v_mad_u64_u32 v[144:145], null, v160, v9, v[149:150]
	v_mov_b32_e32 v150, v135
	s_delay_alu instid0(VALU_DEP_2) | instskip(NEXT) | instid1(VALU_DEP_1)
	v_add_co_u32 v149, s15, v144, v146
	v_add_co_ci_u32_e64 v163, s15, 0, v145, s15
	v_mad_u64_u32 v[144:145], null, v162, v9, v[2:3]
	s_delay_alu instid0(VALU_DEP_3) | instskip(NEXT) | instid1(VALU_DEP_3)
	v_mul_lo_u32 v165, v149, s17
	v_mul_lo_u32 v164, v163, s16
	v_mad_u64_u32 v[134:135], null, v149, s16, 0
	v_mad_u64_u32 v[146:147], null, v148, v9, v[150:151]
	v_mov_b32_e32 v144, v145
	s_delay_alu instid0(VALU_DEP_3) | instskip(NEXT) | instid1(VALU_DEP_4)
	v_add3_u32 v2, v135, v165, v164
	v_sub_co_u32 v134, s15, v161, v134
	s_delay_alu instid0(VALU_DEP_1) | instskip(NEXT) | instid1(VALU_DEP_4)
	v_sub_co_ci_u32_e64 v135, s15, v160, v2, s15
	v_add_co_u32 v2, s15, v146, v144
	s_delay_alu instid0(VALU_DEP_1) | instskip(NEXT) | instid1(VALU_DEP_3)
	v_add_co_ci_u32_e64 v146, s15, 0, v147, s15
	v_cmp_le_u64_e64 s15, s[16:17], v[134:135]
	s_delay_alu instid0(VALU_DEP_3) | instskip(SKIP_1) | instid1(VALU_DEP_4)
	v_mul_lo_u32 v147, v2, s17
	v_mad_u64_u32 v[134:135], null, v2, s16, 0
	v_mul_lo_u32 v145, v146, s16
	s_delay_alu instid0(VALU_DEP_4) | instskip(NEXT) | instid1(VALU_DEP_1)
	v_cndmask_b32_e64 v144, 0, 1, s15
	v_add_co_u32 v144, s15, v149, v144
	s_delay_alu instid0(VALU_DEP_1) | instskip(NEXT) | instid1(VALU_DEP_4)
	v_add_co_ci_u32_e64 v149, s15, 0, v163, s15
	v_add3_u32 v135, v135, v147, v145
	s_delay_alu instid0(VALU_DEP_3) | instskip(NEXT) | instid1(VALU_DEP_1)
	v_sub_co_u32 v150, s15, 0, v144
	v_sub_co_ci_u32_e64 v151, s15, 0, v149, s15
	v_sub_co_u32 v134, s15, v162, v134
	s_delay_alu instid0(VALU_DEP_3) | instskip(NEXT) | instid1(VALU_DEP_3)
	v_cndmask_b32_e64 v144, v144, v150, s13
	v_cndmask_b32_e64 v145, v149, v151, s13
	v_sub_co_ci_u32_e64 v135, s13, v148, v135, s15
	s_delay_alu instid0(VALU_DEP_1) | instskip(NEXT) | instid1(VALU_DEP_1)
	v_cmp_le_u64_e64 s13, s[16:17], v[134:135]
	v_cndmask_b32_e64 v134, 0, 1, s13
	s_delay_alu instid0(VALU_DEP_1) | instskip(NEXT) | instid1(VALU_DEP_1)
	v_add_co_u32 v2, s13, v2, v134
	v_add_co_ci_u32_e64 v134, s13, 0, v146, s13
	s_delay_alu instid0(VALU_DEP_2) | instskip(NEXT) | instid1(VALU_DEP_1)
	v_sub_co_u32 v146, s13, 0, v2
	v_sub_co_ci_u32_e64 v135, s13, 0, v134, s13
	s_delay_alu instid0(VALU_DEP_1) | instskip(NEXT) | instid1(VALU_DEP_3)
	v_cndmask_b32_e64 v135, v134, v135, s14
	v_cndmask_b32_e64 v134, v2, v146, s14
	s_clause 0x1
	flat_store_b64 v[67:68], v[144:145] glc slc dlc
	flat_store_b64 v[67:68], v[134:135] offset:256 glc slc dlc
	s_clause 0x1
	flat_store_b64 v[69:70], v[144:145] glc slc dlc
	flat_store_b64 v[69:70], v[134:135] offset:256 glc slc dlc
	v_add_co_u32 v67, s13, v67, v114
	s_delay_alu instid0(VALU_DEP_1) | instskip(SKIP_1) | instid1(VALU_DEP_1)
	v_add_co_ci_u32_e64 v68, s13, v68, v115, s13
	v_add_co_u32 v69, s13, v69, v114
	v_add_co_ci_u32_e64 v70, s13, v70, v115, s13
	s_and_not1_b32 exec_lo, exec_lo, s20
	s_cbranch_execnz .LBB4_694
; %bb.695:                              ;   in Loop: Header=BB4_568 Depth=2
	s_or_b32 exec_lo, exec_lo, s20
.LBB4_696:                              ;   in Loop: Header=BB4_568 Depth=2
	s_delay_alu instid0(SALU_CYCLE_1) | instskip(SKIP_2) | instid1(VALU_DEP_1)
	s_or_b32 exec_lo, exec_lo, s12
	v_lshlrev_b32_e32 v2, 9, v133
	s_mov_b32 s20, exec_lo
	v_cmpx_ne_u32_e64 v80, v2
	s_cbranch_execz .LBB4_708
; %bb.697:                              ;   in Loop: Header=BB4_568 Depth=2
	v_mov_b32_e32 v8, -1
	v_mov_b32_e32 v9, -1
	s_cmp_lt_i32 s38, 1
	s_cbranch_scc1 .LBB4_702
; %bb.698:                              ;   in Loop: Header=BB4_568 Depth=2
	s_cmp_lg_u32 s38, 1
	s_cbranch_scc1 .LBB4_700
; %bb.699:                              ;   in Loop: Header=BB4_568 Depth=2
	v_readlane_b32 s12, v42, 1
	v_readlane_b32 s13, v42, 2
	s_mov_b32 s14, s39
	s_mov_b64 s[22:23], 1
	s_delay_alu instid0(VALU_DEP_1)
	s_mov_b32 s15, s13
	v_writelane_b32 v42, s12, 1
	v_writelane_b32 v42, s13, 2
	s_branch .LBB4_701
.LBB4_700:                              ;   in Loop: Header=BB4_568 Depth=2
	s_mov_b64 s[22:23], 3
	s_mov_b64 s[14:15], 0
.LBB4_701:                              ;   in Loop: Header=BB4_568 Depth=2
	v_cmp_lt_u64_e64 s12, s[22:23], s[16:17]
	s_or_b32 s13, s15, 2.0
	s_delay_alu instid0(VALU_DEP_1)
	s_and_b32 s12, s12, exec_lo
	s_cselect_b32 s12, 0, s16
	s_cselect_b32 s15, s15, s13
	s_cselect_b32 s13, 0, s17
	s_sub_u32 s12, s22, s12
	s_subb_u32 s13, s23, s13
	s_or_b32 s19, s15, 0x20000000
	s_lshl_b64 s[12:13], s[12:13], 1
	s_delay_alu instid0(SALU_CYCLE_1) | instskip(NEXT) | instid1(SALU_CYCLE_1)
	s_or_b32 s12, s12, 1
	v_cmp_lt_u64_e64 s18, s[12:13], s[16:17]
	s_delay_alu instid0(VALU_DEP_1)
	s_and_b32 s18, s18, exec_lo
	s_cselect_b32 s18, 0, s16
	s_cselect_b32 s15, s15, s19
	s_cselect_b32 s19, 0, s17
	s_sub_u32 s12, s12, s18
	s_subb_u32 s13, s13, s19
	s_or_b32 s19, s15, 0x10000000
	s_lshl_b64 s[12:13], s[12:13], 1
	s_delay_alu instid0(SALU_CYCLE_1) | instskip(NEXT) | instid1(SALU_CYCLE_1)
	s_or_b32 s12, s12, 1
	v_cmp_lt_u64_e64 s18, s[12:13], s[16:17]
	s_delay_alu instid0(VALU_DEP_1)
	s_and_b32 s18, s18, exec_lo
	s_cselect_b32 s18, 0, s16
	s_cselect_b32 s15, s15, s19
	s_cselect_b32 s19, 0, s17
	s_sub_u32 s12, s12, s18
	s_subb_u32 s13, s13, s19
	s_or_b32 s19, s15, 0x8000000
	s_lshl_b64 s[12:13], s[12:13], 1
	s_delay_alu instid0(SALU_CYCLE_1) | instskip(NEXT) | instid1(SALU_CYCLE_1)
	s_or_b32 s12, s12, 1
	v_cmp_lt_u64_e64 s18, s[12:13], s[16:17]
	s_delay_alu instid0(VALU_DEP_1)
	s_and_b32 s18, s18, exec_lo
	s_cselect_b32 s18, 0, s16
	s_cselect_b32 s15, s15, s19
	s_cselect_b32 s19, 0, s17
	s_sub_u32 s12, s12, s18
	s_subb_u32 s13, s13, s19
	s_or_b32 s19, s15, 0x4000000
	s_lshl_b64 s[12:13], s[12:13], 1
	s_delay_alu instid0(SALU_CYCLE_1) | instskip(NEXT) | instid1(SALU_CYCLE_1)
	s_or_b32 s12, s12, 1
	v_cmp_lt_u64_e64 s18, s[12:13], s[16:17]
	s_delay_alu instid0(VALU_DEP_1)
	s_and_b32 s18, s18, exec_lo
	s_cselect_b32 s18, 0, s16
	s_cselect_b32 s15, s15, s19
	s_cselect_b32 s19, 0, s17
	s_sub_u32 s12, s12, s18
	s_subb_u32 s13, s13, s19
	s_or_b32 s19, s15, 0x2000000
	s_lshl_b64 s[12:13], s[12:13], 1
	s_delay_alu instid0(SALU_CYCLE_1) | instskip(NEXT) | instid1(SALU_CYCLE_1)
	s_or_b32 s12, s12, 1
	v_cmp_lt_u64_e64 s18, s[12:13], s[16:17]
	s_delay_alu instid0(VALU_DEP_1)
	s_and_b32 s18, s18, exec_lo
	s_cselect_b32 s18, 0, s16
	s_cselect_b32 s15, s15, s19
	s_cselect_b32 s19, 0, s17
	s_sub_u32 s12, s12, s18
	s_subb_u32 s13, s13, s19
	s_or_b32 s19, s15, 0x1000000
	s_lshl_b64 s[12:13], s[12:13], 1
	s_delay_alu instid0(SALU_CYCLE_1) | instskip(NEXT) | instid1(SALU_CYCLE_1)
	s_or_b32 s12, s12, 1
	v_cmp_lt_u64_e64 s18, s[12:13], s[16:17]
	s_delay_alu instid0(VALU_DEP_1)
	s_and_b32 s18, s18, exec_lo
	s_cselect_b32 s18, 0, s16
	s_cselect_b32 s15, s15, s19
	s_cselect_b32 s19, 0, s17
	s_sub_u32 s12, s12, s18
	s_subb_u32 s13, s13, s19
	s_or_b32 s19, s15, 0x800000
	s_lshl_b64 s[12:13], s[12:13], 1
	s_delay_alu instid0(SALU_CYCLE_1) | instskip(NEXT) | instid1(SALU_CYCLE_1)
	s_or_b32 s12, s12, 1
	v_cmp_lt_u64_e64 s18, s[12:13], s[16:17]
	s_delay_alu instid0(VALU_DEP_1)
	s_and_b32 s18, s18, exec_lo
	s_cselect_b32 s18, 0, s16
	s_cselect_b32 s15, s15, s19
	s_cselect_b32 s19, 0, s17
	s_sub_u32 s12, s12, s18
	s_subb_u32 s13, s13, s19
	s_or_b32 s19, s15, 0x400000
	s_lshl_b64 s[12:13], s[12:13], 1
	s_delay_alu instid0(SALU_CYCLE_1) | instskip(NEXT) | instid1(SALU_CYCLE_1)
	s_or_b32 s12, s12, 1
	v_cmp_lt_u64_e64 s18, s[12:13], s[16:17]
	s_delay_alu instid0(VALU_DEP_1)
	s_and_b32 s18, s18, exec_lo
	s_cselect_b32 s18, 0, s16
	s_cselect_b32 s15, s15, s19
	s_cselect_b32 s19, 0, s17
	s_sub_u32 s12, s12, s18
	s_subb_u32 s13, s13, s19
	s_or_b32 s19, s15, 0x200000
	s_lshl_b64 s[12:13], s[12:13], 1
	s_delay_alu instid0(SALU_CYCLE_1) | instskip(NEXT) | instid1(SALU_CYCLE_1)
	s_or_b32 s12, s12, 1
	v_cmp_lt_u64_e64 s18, s[12:13], s[16:17]
	s_delay_alu instid0(VALU_DEP_1)
	s_and_b32 s18, s18, exec_lo
	s_cselect_b32 s18, 0, s16
	s_cselect_b32 s15, s15, s19
	s_cselect_b32 s19, 0, s17
	s_sub_u32 s12, s12, s18
	s_subb_u32 s13, s13, s19
	s_or_b32 s19, s15, 0x100000
	s_lshl_b64 s[12:13], s[12:13], 1
	s_delay_alu instid0(SALU_CYCLE_1) | instskip(NEXT) | instid1(SALU_CYCLE_1)
	s_or_b32 s12, s12, 1
	v_cmp_lt_u64_e64 s18, s[12:13], s[16:17]
	s_delay_alu instid0(VALU_DEP_1)
	s_and_b32 s18, s18, exec_lo
	s_cselect_b32 s18, 0, s16
	s_cselect_b32 s15, s15, s19
	s_cselect_b32 s19, 0, s17
	s_sub_u32 s12, s12, s18
	s_subb_u32 s13, s13, s19
	s_or_b32 s19, s15, 0x80000
	s_lshl_b64 s[12:13], s[12:13], 1
	s_delay_alu instid0(SALU_CYCLE_1) | instskip(NEXT) | instid1(SALU_CYCLE_1)
	s_or_b32 s12, s12, 1
	v_cmp_lt_u64_e64 s18, s[12:13], s[16:17]
	s_delay_alu instid0(VALU_DEP_1)
	s_and_b32 s18, s18, exec_lo
	s_cselect_b32 s18, 0, s16
	s_cselect_b32 s15, s15, s19
	s_cselect_b32 s19, 0, s17
	s_sub_u32 s12, s12, s18
	s_subb_u32 s13, s13, s19
	s_or_b32 s19, s15, 0x40000
	s_lshl_b64 s[12:13], s[12:13], 1
	s_delay_alu instid0(SALU_CYCLE_1) | instskip(NEXT) | instid1(SALU_CYCLE_1)
	s_or_b32 s12, s12, 1
	v_cmp_lt_u64_e64 s18, s[12:13], s[16:17]
	s_delay_alu instid0(VALU_DEP_1)
	s_and_b32 s18, s18, exec_lo
	s_cselect_b32 s18, 0, s16
	s_cselect_b32 s15, s15, s19
	s_cselect_b32 s19, 0, s17
	s_sub_u32 s12, s12, s18
	s_subb_u32 s13, s13, s19
	s_or_b32 s19, s15, 0x20000
	s_lshl_b64 s[12:13], s[12:13], 1
	s_delay_alu instid0(SALU_CYCLE_1) | instskip(NEXT) | instid1(SALU_CYCLE_1)
	s_or_b32 s12, s12, 1
	v_cmp_lt_u64_e64 s18, s[12:13], s[16:17]
	s_delay_alu instid0(VALU_DEP_1)
	s_and_b32 s18, s18, exec_lo
	s_cselect_b32 s18, 0, s16
	s_cselect_b32 s15, s15, s19
	s_cselect_b32 s19, 0, s17
	s_sub_u32 s12, s12, s18
	s_subb_u32 s13, s13, s19
	s_or_b32 s19, s15, 0x10000
	s_lshl_b64 s[12:13], s[12:13], 1
	s_delay_alu instid0(SALU_CYCLE_1) | instskip(NEXT) | instid1(SALU_CYCLE_1)
	s_or_b32 s12, s12, 1
	v_cmp_lt_u64_e64 s18, s[12:13], s[16:17]
	s_delay_alu instid0(VALU_DEP_1)
	s_and_b32 s18, s18, exec_lo
	s_cselect_b32 s18, 0, s16
	s_cselect_b32 s15, s15, s19
	s_cselect_b32 s19, 0, s17
	s_sub_u32 s12, s12, s18
	s_subb_u32 s13, s13, s19
	s_or_b32 s19, s15, 0x8000
	s_lshl_b64 s[12:13], s[12:13], 1
	s_delay_alu instid0(SALU_CYCLE_1) | instskip(NEXT) | instid1(SALU_CYCLE_1)
	s_or_b32 s12, s12, 1
	v_cmp_lt_u64_e64 s18, s[12:13], s[16:17]
	s_delay_alu instid0(VALU_DEP_1)
	s_and_b32 s18, s18, exec_lo
	s_cselect_b32 s18, 0, s16
	s_cselect_b32 s15, s15, s19
	s_cselect_b32 s19, 0, s17
	s_sub_u32 s12, s12, s18
	s_subb_u32 s13, s13, s19
	s_or_b32 s19, s15, 0x4000
	s_lshl_b64 s[12:13], s[12:13], 1
	s_delay_alu instid0(SALU_CYCLE_1) | instskip(NEXT) | instid1(SALU_CYCLE_1)
	s_or_b32 s12, s12, 1
	v_cmp_lt_u64_e64 s18, s[12:13], s[16:17]
	s_delay_alu instid0(VALU_DEP_1)
	s_and_b32 s18, s18, exec_lo
	s_cselect_b32 s18, 0, s16
	s_cselect_b32 s15, s15, s19
	s_cselect_b32 s19, 0, s17
	s_sub_u32 s12, s12, s18
	s_subb_u32 s13, s13, s19
	s_or_b32 s19, s15, 0x2000
	s_lshl_b64 s[12:13], s[12:13], 1
	s_delay_alu instid0(SALU_CYCLE_1) | instskip(NEXT) | instid1(SALU_CYCLE_1)
	s_or_b32 s12, s12, 1
	v_cmp_lt_u64_e64 s18, s[12:13], s[16:17]
	s_delay_alu instid0(VALU_DEP_1)
	s_and_b32 s18, s18, exec_lo
	s_cselect_b32 s18, 0, s16
	s_cselect_b32 s15, s15, s19
	s_cselect_b32 s19, 0, s17
	s_sub_u32 s12, s12, s18
	s_subb_u32 s13, s13, s19
	s_or_b32 s19, s15, 0x1000
	s_lshl_b64 s[12:13], s[12:13], 1
	s_delay_alu instid0(SALU_CYCLE_1) | instskip(NEXT) | instid1(SALU_CYCLE_1)
	s_or_b32 s12, s12, 1
	v_cmp_lt_u64_e64 s18, s[12:13], s[16:17]
	s_delay_alu instid0(VALU_DEP_1)
	s_and_b32 s18, s18, exec_lo
	s_cselect_b32 s18, 0, s16
	s_cselect_b32 s15, s15, s19
	s_cselect_b32 s19, 0, s17
	s_sub_u32 s12, s12, s18
	s_subb_u32 s13, s13, s19
	s_or_b32 s19, s15, 0x800
	s_lshl_b64 s[12:13], s[12:13], 1
	s_delay_alu instid0(SALU_CYCLE_1) | instskip(NEXT) | instid1(SALU_CYCLE_1)
	s_or_b32 s12, s12, 1
	v_cmp_lt_u64_e64 s18, s[12:13], s[16:17]
	s_delay_alu instid0(VALU_DEP_1)
	s_and_b32 s18, s18, exec_lo
	s_cselect_b32 s18, 0, s16
	s_cselect_b32 s15, s15, s19
	s_cselect_b32 s19, 0, s17
	s_sub_u32 s12, s12, s18
	s_subb_u32 s13, s13, s19
	s_or_b32 s19, s15, 0x400
	s_lshl_b64 s[12:13], s[12:13], 1
	s_delay_alu instid0(SALU_CYCLE_1) | instskip(NEXT) | instid1(SALU_CYCLE_1)
	s_or_b32 s12, s12, 1
	v_cmp_lt_u64_e64 s18, s[12:13], s[16:17]
	s_delay_alu instid0(VALU_DEP_1)
	s_and_b32 s18, s18, exec_lo
	s_cselect_b32 s18, 0, s16
	s_cselect_b32 s15, s15, s19
	s_cselect_b32 s19, 0, s17
	s_sub_u32 s12, s12, s18
	s_subb_u32 s13, s13, s19
	s_or_b32 s19, s15, 0x200
	s_lshl_b64 s[12:13], s[12:13], 1
	s_delay_alu instid0(SALU_CYCLE_1) | instskip(NEXT) | instid1(SALU_CYCLE_1)
	s_or_b32 s12, s12, 1
	v_cmp_lt_u64_e64 s18, s[12:13], s[16:17]
	s_delay_alu instid0(VALU_DEP_1)
	s_and_b32 s18, s18, exec_lo
	s_cselect_b32 s18, 0, s16
	s_cselect_b32 s15, s15, s19
	s_cselect_b32 s19, 0, s17
	s_sub_u32 s12, s12, s18
	s_subb_u32 s13, s13, s19
	s_or_b32 s19, s15, 0x100
	s_lshl_b64 s[12:13], s[12:13], 1
	s_delay_alu instid0(SALU_CYCLE_1) | instskip(NEXT) | instid1(SALU_CYCLE_1)
	s_or_b32 s12, s12, 1
	v_cmp_lt_u64_e64 s18, s[12:13], s[16:17]
	s_delay_alu instid0(VALU_DEP_1)
	s_and_b32 s18, s18, exec_lo
	s_cselect_b32 s18, 0, s16
	s_cselect_b32 s15, s15, s19
	s_cselect_b32 s19, 0, s17
	s_sub_u32 s12, s12, s18
	s_subb_u32 s13, s13, s19
	s_or_b32 s19, s15, 0x80
	s_lshl_b64 s[12:13], s[12:13], 1
	s_delay_alu instid0(SALU_CYCLE_1) | instskip(NEXT) | instid1(SALU_CYCLE_1)
	s_or_b32 s12, s12, 1
	v_cmp_lt_u64_e64 s18, s[12:13], s[16:17]
	s_delay_alu instid0(VALU_DEP_1)
	s_and_b32 s18, s18, exec_lo
	s_cselect_b32 s18, 0, s16
	s_cselect_b32 s15, s15, s19
	s_cselect_b32 s19, 0, s17
	s_sub_u32 s12, s12, s18
	s_subb_u32 s13, s13, s19
	s_or_b32 s19, s15, 64
	s_lshl_b64 s[12:13], s[12:13], 1
	s_delay_alu instid0(SALU_CYCLE_1) | instskip(NEXT) | instid1(SALU_CYCLE_1)
	s_or_b32 s12, s12, 1
	v_cmp_lt_u64_e64 s18, s[12:13], s[16:17]
	s_delay_alu instid0(VALU_DEP_1)
	s_and_b32 s18, s18, exec_lo
	s_cselect_b32 s18, 0, s16
	s_cselect_b32 s15, s15, s19
	s_cselect_b32 s19, 0, s17
	s_sub_u32 s12, s12, s18
	s_subb_u32 s13, s13, s19
	s_or_b32 s19, s15, 32
	s_lshl_b64 s[12:13], s[12:13], 1
	s_delay_alu instid0(SALU_CYCLE_1) | instskip(NEXT) | instid1(SALU_CYCLE_1)
	s_or_b32 s12, s12, 1
	v_cmp_lt_u64_e64 s18, s[12:13], s[16:17]
	s_delay_alu instid0(VALU_DEP_1)
	s_and_b32 s18, s18, exec_lo
	s_cselect_b32 s18, 0, s16
	s_cselect_b32 s15, s15, s19
	s_cselect_b32 s19, 0, s17
	s_sub_u32 s12, s12, s18
	s_subb_u32 s13, s13, s19
	s_or_b32 s19, s15, 16
	s_lshl_b64 s[12:13], s[12:13], 1
	s_delay_alu instid0(SALU_CYCLE_1) | instskip(NEXT) | instid1(SALU_CYCLE_1)
	s_or_b32 s12, s12, 1
	v_cmp_lt_u64_e64 s18, s[12:13], s[16:17]
	s_delay_alu instid0(VALU_DEP_1)
	s_and_b32 s18, s18, exec_lo
	s_cselect_b32 s18, 0, s16
	s_cselect_b32 s15, s15, s19
	s_cselect_b32 s19, 0, s17
	s_sub_u32 s12, s12, s18
	s_subb_u32 s13, s13, s19
	s_or_b32 s19, s15, 8
	s_lshl_b64 s[12:13], s[12:13], 1
	s_delay_alu instid0(SALU_CYCLE_1) | instskip(NEXT) | instid1(SALU_CYCLE_1)
	s_or_b32 s12, s12, 1
	v_cmp_lt_u64_e64 s18, s[12:13], s[16:17]
	s_delay_alu instid0(VALU_DEP_1)
	s_and_b32 s18, s18, exec_lo
	s_cselect_b32 s18, 0, s16
	s_cselect_b32 s15, s15, s19
	s_cselect_b32 s19, 0, s17
	s_sub_u32 s12, s12, s18
	s_subb_u32 s13, s13, s19
	s_or_b32 s19, s15, 4
	s_lshl_b64 s[12:13], s[12:13], 1
	s_delay_alu instid0(SALU_CYCLE_1) | instskip(NEXT) | instid1(SALU_CYCLE_1)
	s_or_b32 s12, s12, 1
	v_cmp_lt_u64_e64 s18, s[12:13], s[16:17]
	s_delay_alu instid0(VALU_DEP_1)
	s_and_b32 s18, s18, exec_lo
	s_cselect_b32 s18, 0, s16
	s_cselect_b32 s15, s15, s19
	s_cselect_b32 s19, 0, s17
	s_sub_u32 s12, s12, s18
	s_subb_u32 s13, s13, s19
	s_or_b32 s19, s15, 2
	s_lshl_b64 s[12:13], s[12:13], 1
	s_delay_alu instid0(SALU_CYCLE_1) | instskip(NEXT) | instid1(SALU_CYCLE_1)
	s_or_b32 s12, s12, 1
	v_cmp_lt_u64_e64 s18, s[12:13], s[16:17]
	s_delay_alu instid0(VALU_DEP_1)
	s_and_b32 s18, s18, exec_lo
	s_cselect_b32 s18, 0, s16
	s_cselect_b32 s15, s15, s19
	s_cselect_b32 s19, 0, s17
	s_sub_u32 s12, s12, s18
	s_subb_u32 s13, s13, s19
	s_delay_alu instid0(SALU_CYCLE_1) | instskip(SKIP_2) | instid1(SALU_CYCLE_1)
	s_lshl_b64 s[18:19], s[12:13], 1
	s_or_b32 s13, s15, 1
	s_or_b32 s18, s18, 1
	v_cmp_lt_u64_e64 s12, s[18:19], s[16:17]
	s_delay_alu instid0(VALU_DEP_1)
	s_and_b32 s12, s12, exec_lo
	s_cselect_b32 s12, s15, s13
	s_cselect_b32 s13, 0, s16
	;; [unrolled: 1-line block ×3, first 2 shown]
	s_sub_u32 s18, s18, s13
	s_subb_u32 s19, s19, s15
	s_or_b32 s15, s14, 0x80000000
	s_lshl_b64 s[18:19], s[18:19], 1
	v_mov_b32_e32 v9, s12
	s_or_b32 s18, s18, 1
	s_delay_alu instid0(SALU_CYCLE_1) | instskip(NEXT) | instid1(VALU_DEP_1)
	v_cmp_lt_u64_e64 s13, s[18:19], s[16:17]
	s_and_b32 s13, s13, exec_lo
	s_cselect_b32 s13, s14, s15
	s_cselect_b32 s14, 0, s16
	;; [unrolled: 1-line block ×3, first 2 shown]
	s_sub_u32 s14, s18, s14
	s_subb_u32 s15, s19, s15
	s_or_b32 s19, s13, 2.0
	s_lshl_b64 s[14:15], s[14:15], 1
	s_delay_alu instid0(SALU_CYCLE_1) | instskip(NEXT) | instid1(SALU_CYCLE_1)
	s_or_b32 s14, s14, 1
	v_cmp_lt_u64_e64 s18, s[14:15], s[16:17]
	s_delay_alu instid0(VALU_DEP_1)
	s_and_b32 s18, s18, exec_lo
	s_cselect_b32 s18, 0, s16
	s_cselect_b32 s13, s13, s19
	s_cselect_b32 s19, 0, s17
	s_sub_u32 s14, s14, s18
	s_subb_u32 s15, s15, s19
	s_or_b32 s19, s13, 0x20000000
	s_lshl_b64 s[14:15], s[14:15], 1
	s_delay_alu instid0(SALU_CYCLE_1) | instskip(NEXT) | instid1(SALU_CYCLE_1)
	s_or_b32 s14, s14, 1
	v_cmp_lt_u64_e64 s18, s[14:15], s[16:17]
	s_delay_alu instid0(VALU_DEP_1)
	s_and_b32 s18, s18, exec_lo
	s_cselect_b32 s18, 0, s16
	s_cselect_b32 s13, s13, s19
	s_cselect_b32 s19, 0, s17
	s_sub_u32 s14, s14, s18
	s_subb_u32 s15, s15, s19
	s_or_b32 s19, s13, 0x10000000
	;; [unrolled: 12-line block ×29, first 2 shown]
	s_lshl_b64 s[14:15], s[14:15], 1
	s_delay_alu instid0(SALU_CYCLE_1) | instskip(NEXT) | instid1(SALU_CYCLE_1)
	s_or_b32 s14, s14, 1
	v_cmp_lt_u64_e64 s18, s[14:15], s[16:17]
	s_delay_alu instid0(VALU_DEP_1)
	s_and_b32 s18, s18, exec_lo
	s_cselect_b32 s18, 0, s16
	s_cselect_b32 s13, s13, s19
	;; [unrolled: 1-line block ×3, first 2 shown]
	s_sub_u32 s14, s14, s18
	s_subb_u32 s15, s15, s19
	s_delay_alu instid0(SALU_CYCLE_1) | instskip(NEXT) | instid1(SALU_CYCLE_1)
	s_lshl_b64 s[14:15], s[14:15], 1
	s_or_b32 s14, s14, 1
	s_delay_alu instid0(SALU_CYCLE_1) | instskip(NEXT) | instid1(VALU_DEP_1)
	v_cmp_ge_u64_e64 s14, s[14:15], s[16:17]
	v_cndmask_b32_e64 v8, 0, 1, s14
	s_delay_alu instid0(VALU_DEP_1)
	v_or_b32_e32 v8, s13, v8
.LBB4_702:                              ;   in Loop: Header=BB4_568 Depth=2
	v_lshlrev_b32_e32 v10, 5, v83
	s_delay_alu instid0(VALU_DEP_1) | instskip(NEXT) | instid1(VALU_DEP_1)
	v_sub_nc_u32_e32 v10, v82, v10
	v_ashrrev_i32_e32 v11, 31, v10
	s_delay_alu instid0(VALU_DEP_1) | instskip(NEXT) | instid1(VALU_DEP_1)
	v_lshrrev_b32_e32 v11, 27, v11
	v_add_nc_u32_e32 v11, v10, v11
	s_delay_alu instid0(VALU_DEP_1) | instskip(SKIP_1) | instid1(VALU_DEP_2)
	v_and_b32_e32 v65, 0x1fffffe0, v11
	v_lshlrev_b32_e32 v11, 3, v11
	v_sub_nc_u32_e32 v10, v10, v65
	s_delay_alu instid0(VALU_DEP_2) | instskip(NEXT) | instid1(VALU_DEP_1)
	v_and_b32_e32 v11, 0xffffff00, v11
	v_lshl_add_u32 v10, v10, 3, v11
	s_delay_alu instid0(VALU_DEP_1) | instskip(NEXT) | instid1(VALU_DEP_1)
	v_add_nc_u32_e32 v11, v2, v10
	v_sub_nc_u32_e32 v82, v80, v11
	s_delay_alu instid0(VALU_DEP_1)
	v_cmp_lt_i32_e32 vcc_lo, 7, v82
	s_and_b32 exec_lo, exec_lo, vcc_lo
	s_cbranch_execz .LBB4_708
; %bb.703:                              ;   in Loop: Header=BB4_568 Depth=2
	s_cbranch_execnz .LBB4_1867
; %bb.704:                              ;   in Loop: Header=BB4_568 Depth=2
	ds_load_b128 v[65:68], v0
	v_add3_u32 v2, v2, v81, v10
	s_cmp_lt_i32 s30, 0
	s_mov_b32 s12, 0
	s_cselect_b32 s18, -1, 0
	s_delay_alu instid0(VALU_DEP_1) | instskip(SKIP_2) | instid1(VALU_DEP_2)
	v_ashrrev_i32_e32 v69, 31, v2
	s_waitcnt lgkmcnt(0)
	v_add_co_u32 v10, vcc_lo, v65, v2
	v_add_co_ci_u32_e32 v11, vcc_lo, v66, v69, vcc_lo
	v_add_co_u32 v65, vcc_lo, v67, v2
	v_add_co_ci_u32_e32 v66, vcc_lo, v68, v69, vcc_lo
	s_delay_alu instid0(VALU_DEP_3) | instskip(NEXT) | instid1(VALU_DEP_2)
	v_dual_mov_b32 v68, v11 :: v_dual_mov_b32 v67, v10
	v_dual_mov_b32 v70, v66 :: v_dual_mov_b32 v69, v65
.LBB4_705:                              ;   Parent Loop BB4_55 Depth=1
                                        ;     Parent Loop BB4_568 Depth=2
                                        ; =>    This Loop Header: Depth=3
                                        ;         Child Loop BB4_706 Depth 4
	flat_load_b64 v[80:81], v[67:68] slc dlc
	flat_load_b64 v[133:134], v[69:70] slc dlc
	s_mov_b64 s[14:15], 0
	s_waitcnt vmcnt(0) lgkmcnt(0)
	v_add_co_u32 v80, vcc_lo, v133, v80
	v_add_co_ci_u32_e32 v81, vcc_lo, v134, v81, vcc_lo
	v_mov_b32_e32 v134, v3
	s_delay_alu instid0(VALU_DEP_3) | instskip(NEXT) | instid1(VALU_DEP_3)
	v_sub_co_u32 v2, s13, 0, v80
	v_cmp_gt_i64_e32 vcc_lo, 0, v[80:81]
	v_sub_co_ci_u32_e64 v83, s13, 0, v81, s13
	s_and_b32 vcc_lo, s18, vcc_lo
	s_delay_alu instid0(VALU_DEP_3) | instskip(NEXT) | instid1(VALU_DEP_2)
	v_cndmask_b32_e32 v135, v80, v2, vcc_lo
	v_cndmask_b32_e32 v83, v81, v83, vcc_lo
	s_delay_alu instid0(VALU_DEP_2) | instskip(NEXT) | instid1(VALU_DEP_1)
	v_mul_hi_u32 v2, v135, v8
	v_mad_u64_u32 v[80:81], null, v83, v8, v[2:3]
	s_delay_alu instid0(VALU_DEP_1) | instskip(NEXT) | instid1(VALU_DEP_1)
	v_dual_mov_b32 v2, v80 :: v_dual_mov_b32 v133, v81
	v_mad_u64_u32 v[80:81], null, v135, v9, v[2:3]
	s_delay_alu instid0(VALU_DEP_2) | instskip(NEXT) | instid1(VALU_DEP_2)
	v_mad_u64_u32 v[144:145], null, v83, v9, v[133:134]
	v_mov_b32_e32 v2, v81
	s_delay_alu instid0(VALU_DEP_1) | instskip(NEXT) | instid1(VALU_DEP_1)
	v_add_co_u32 v2, s13, v144, v2
	v_add_co_ci_u32_e64 v133, s13, 0, v145, s13
	s_delay_alu instid0(VALU_DEP_2) | instskip(SKIP_1) | instid1(VALU_DEP_3)
	v_mul_lo_u32 v144, v2, s17
	v_mad_u64_u32 v[80:81], null, v2, s16, 0
	v_mul_lo_u32 v134, v133, s16
	s_delay_alu instid0(VALU_DEP_2) | instskip(NEXT) | instid1(VALU_DEP_2)
	v_sub_co_u32 v80, s13, v135, v80
	v_add3_u32 v81, v81, v144, v134
	s_delay_alu instid0(VALU_DEP_1) | instskip(NEXT) | instid1(VALU_DEP_1)
	v_sub_co_ci_u32_e64 v81, s13, v83, v81, s13
	v_cmp_le_u64_e64 s13, s[16:17], v[80:81]
	s_delay_alu instid0(VALU_DEP_1) | instskip(NEXT) | instid1(VALU_DEP_1)
	v_cndmask_b32_e64 v80, 0, 1, s13
	v_add_co_u32 v2, s13, v2, v80
	s_delay_alu instid0(VALU_DEP_1) | instskip(NEXT) | instid1(VALU_DEP_2)
	v_add_co_ci_u32_e64 v80, s13, 0, v133, s13
	v_sub_co_u32 v83, s13, 0, v2
	s_delay_alu instid0(VALU_DEP_1) | instskip(SKIP_1) | instid1(VALU_DEP_1)
	v_sub_co_ci_u32_e64 v81, s13, 0, v80, s13
	s_mov_b32 s13, -1
	v_dual_cndmask_b32 v81, v80, v81 :: v_dual_cndmask_b32 v80, v2, v83
.LBB4_706:                              ;   Parent Loop BB4_55 Depth=1
                                        ;     Parent Loop BB4_568 Depth=2
                                        ;       Parent Loop BB4_705 Depth=3
                                        ; =>      This Inner Loop Header: Depth=4
	s_cmp_eq_u32 s14, 0
	v_cndmask_b32_e64 v2, 0, 1, s13
	s_cselect_b32 vcc_lo, -1, 0
	s_cmp_eq_u32 s14, 1
	s_cselect_b32 s13, -1, 0
	s_delay_alu instid0(SALU_CYCLE_1) | instskip(SKIP_1) | instid1(VALU_DEP_2)
	v_cndmask_b32_e64 v133, v10, v65, s13
	v_cndmask_b32_e64 v134, v11, v66, s13
	v_add_co_u32 v83, s14, 0x100, v133
	s_delay_alu instid0(VALU_DEP_1) | instskip(SKIP_1) | instid1(VALU_DEP_3)
	v_add_co_ci_u32_e64 v135, s14, 0, v134, s14
	v_cmp_ne_u32_e64 s14, 1, v2
	v_cndmask_b32_e64 v65, v65, v83, s13
	v_cndmask_b32_e32 v10, v10, v83, vcc_lo
	s_delay_alu instid0(VALU_DEP_4)
	v_cndmask_b32_e64 v66, v66, v135, s13
	v_cndmask_b32_e32 v11, v11, v135, vcc_lo
	s_mov_b32 s13, 0
	s_and_b32 vcc_lo, exec_lo, s14
	s_mov_b64 s[14:15], 1
	flat_store_b64 v[133:134], v[80:81] glc slc dlc
	s_cbranch_vccz .LBB4_706
; %bb.707:                              ;   in Loop: Header=BB4_705 Depth=3
	v_add_co_u32 v67, vcc_lo, v67, v117
	v_add_co_ci_u32_e32 v68, vcc_lo, v68, v118, vcc_lo
	v_add_co_u32 v69, vcc_lo, v69, v117
	v_sub_nc_u32_e32 v82, v82, v101
	v_add_co_ci_u32_e32 v70, vcc_lo, v70, v118, vcc_lo
	v_add_co_u32 v10, vcc_lo, v10, v113
	v_add_co_ci_u32_e32 v11, vcc_lo, v11, v116, vcc_lo
	s_delay_alu instid0(VALU_DEP_4) | instskip(SKIP_1) | instid1(VALU_DEP_1)
	v_cmp_gt_i32_e32 vcc_lo, 8, v82
	v_add_co_u32 v65, s13, v65, v113
	v_add_co_ci_u32_e64 v66, s13, v66, v116, s13
	s_or_b32 s12, vcc_lo, s12
	s_delay_alu instid0(SALU_CYCLE_1)
	s_and_not1_b32 exec_lo, exec_lo, s12
	s_cbranch_execnz .LBB4_705
.LBB4_708:                              ;   in Loop: Header=BB4_568 Depth=2
	s_or_b32 exec_lo, exec_lo, s20
.LBB4_709:                              ;   in Loop: Header=BB4_568 Depth=2
	s_delay_alu instid0(SALU_CYCLE_1)
	s_or_b32 exec_lo, exec_lo, s31
	s_mov_b32 s12, 0
.LBB4_710:                              ;   in Loop: Header=BB4_568 Depth=2
	s_delay_alu instid0(SALU_CYCLE_1)
	s_and_b32 vcc_lo, exec_lo, s12
	s_cbranch_vccz .LBB4_768
; %bb.711:                              ;   in Loop: Header=BB4_568 Depth=2
	s_mov_b32 s12, -1
	s_mov_b32 s13, exec_lo
	v_readlane_b32 s14, v42, 0
	s_delay_alu instid0(VALU_DEP_1) | instskip(NEXT) | instid1(SALU_CYCLE_1)
	s_and_b32 s14, s13, s14
	s_mov_b32 exec_lo, s14
	s_cbranch_execz .LBB4_713
; %bb.712:                              ;   in Loop: Header=BB4_568 Depth=2
	ds_load_b32 v2, v0 offset:720
	s_waitcnt lgkmcnt(0)
	v_and_b32_e32 v2, 15, v2
	s_delay_alu instid0(VALU_DEP_1)
	v_cmp_eq_u32_e32 vcc_lo, 0, v2
	s_or_not1_b32 s12, vcc_lo, exec_lo
.LBB4_713:                              ;   in Loop: Header=BB4_568 Depth=2
	s_or_b32 exec_lo, exec_lo, s13
	s_and_saveexec_b32 s13, s5
	s_cbranch_execz .LBB4_715
; %bb.714:                              ;   in Loop: Header=BB4_568 Depth=2
	ds_load_b32 v2, v0 offset:784
	s_waitcnt lgkmcnt(0)
	v_and_b32_e32 v2, 15, v2
	s_delay_alu instid0(VALU_DEP_1) | instskip(SKIP_3) | instid1(SALU_CYCLE_1)
	v_cmp_eq_u32_e32 vcc_lo, 0, v2
	s_and_b32 s14, s12, vcc_lo
	s_and_not1_b32 s12, s12, exec_lo
	s_and_b32 s14, s14, exec_lo
	s_or_b32 s12, s12, s14
.LBB4_715:                              ;   in Loop: Header=BB4_568 Depth=2
	s_or_b32 exec_lo, exec_lo, s13
	s_xor_b32 s12, s12, -1
	s_mov_b32 s17, -1
	v_cndmask_b32_e64 v2, 0, 1, s12
	;;#ASMSTART
	;;#ASMEND
	s_delay_alu instid0(VALU_DEP_1)
	v_cmp_ne_u32_e32 vcc_lo, 0, v2
	v_alignbit_b32 v2, v64, v64, 1
	s_cbranch_vccz .LBB4_717
; %bb.716:                              ;   in Loop: Header=BB4_568 Depth=2
	s_delay_alu instid0(VALU_DEP_1) | instskip(SKIP_3) | instid1(VALU_DEP_2)
	v_readfirstlane_b32 s12, v2
	v_readfirstlane_b32 s30, v2
	s_mov_b32 s17, 0
	s_mov_b32 s22, -1
	s_and_b32 s16, s12, 0x7fffffff
	s_delay_alu instid0(SALU_CYCLE_1)
	s_mov_b32 s38, s16
	s_branch .LBB4_718
.LBB4_717:                              ;   in Loop: Header=BB4_568 Depth=2
	s_mov_b32 s22, 0
                                        ; implicit-def: $sgpr30
.LBB4_718:                              ;   in Loop: Header=BB4_568 Depth=2
	s_and_not1_b32 vcc_lo, exec_lo, s17
	s_cbranch_vccnz .LBB4_722
; %bb.719:                              ;   in Loop: Header=BB4_568 Depth=2
	v_readfirstlane_b32 s12, v2
	v_mov_b32_e32 v8, -1
	v_readfirstlane_b32 s30, v2
	v_mov_b32_e32 v9, -1
	s_delay_alu instid0(VALU_DEP_4) | instskip(NEXT) | instid1(SALU_CYCLE_1)
	s_and_b32 s38, s12, 0x7fffffff
	s_cmp_lt_i32 s38, 1
	s_cbranch_scc1 .LBB4_725
; %bb.720:                              ;   in Loop: Header=BB4_568 Depth=2
	s_cmp_lg_u32 s38, 1
	s_cbranch_scc1 .LBB4_723
; %bb.721:                              ;   in Loop: Header=BB4_568 Depth=2
	v_readlane_b32 s12, v42, 1
	v_readlane_b32 s13, v42, 2
	s_mov_b32 s14, s39
	s_mov_b64 s[16:17], 1
	s_delay_alu instid0(VALU_DEP_1)
	s_mov_b32 s15, s13
	v_writelane_b32 v42, s12, 1
	v_writelane_b32 v42, s13, 2
	s_branch .LBB4_724
.LBB4_722:                              ;   in Loop: Header=BB4_568 Depth=2
	v_dual_mov_b32 v68, s17 :: v_dual_mov_b32 v69, v96
	v_mov_b32_e32 v2, v87
	s_branch .LBB4_745
.LBB4_723:                              ;   in Loop: Header=BB4_568 Depth=2
	s_mov_b64 s[16:17], 3
	s_mov_b64 s[14:15], 0
.LBB4_724:                              ;   in Loop: Header=BB4_568 Depth=2
	v_cmp_lt_u64_e64 s12, s[16:17], s[38:39]
	s_or_b32 s13, s15, 2.0
	s_delay_alu instid0(VALU_DEP_1)
	s_and_b32 s12, s12, exec_lo
	s_cselect_b32 s12, 0, s38
	s_cselect_b32 s15, s15, s13
	s_cselect_b32 s13, 0, 0
	s_sub_u32 s12, s16, s12
	s_subb_u32 s13, s17, s13
	s_or_b32 s17, s15, 0x20000000
	s_lshl_b64 s[12:13], s[12:13], 1
	s_delay_alu instid0(SALU_CYCLE_1) | instskip(NEXT) | instid1(SALU_CYCLE_1)
	s_or_b32 s12, s12, 1
	v_cmp_lt_u64_e64 s16, s[12:13], s[38:39]
	s_delay_alu instid0(VALU_DEP_1)
	s_and_b32 s16, s16, exec_lo
	s_cselect_b32 s16, 0, s38
	s_cselect_b32 s15, s15, s17
	s_cselect_b32 s17, 0, 0
	s_sub_u32 s12, s12, s16
	s_subb_u32 s13, s13, s17
	s_or_b32 s17, s15, 0x10000000
	s_lshl_b64 s[12:13], s[12:13], 1
	s_delay_alu instid0(SALU_CYCLE_1) | instskip(NEXT) | instid1(SALU_CYCLE_1)
	s_or_b32 s12, s12, 1
	v_cmp_lt_u64_e64 s16, s[12:13], s[38:39]
	;; [unrolled: 12-line block ×29, first 2 shown]
	s_delay_alu instid0(VALU_DEP_1)
	s_and_b32 s16, s16, exec_lo
	s_cselect_b32 s16, 0, s38
	s_cselect_b32 s15, s15, s17
	;; [unrolled: 1-line block ×3, first 2 shown]
	s_sub_u32 s12, s12, s16
	s_subb_u32 s13, s13, s17
	s_delay_alu instid0(SALU_CYCLE_1) | instskip(SKIP_2) | instid1(SALU_CYCLE_1)
	s_lshl_b64 s[16:17], s[12:13], 1
	s_or_b32 s13, s15, 1
	s_or_b32 s16, s16, 1
	v_cmp_lt_u64_e64 s12, s[16:17], s[38:39]
	s_delay_alu instid0(VALU_DEP_1)
	s_and_b32 s12, s12, exec_lo
	s_cselect_b32 s12, s15, s13
	s_cselect_b32 s13, 0, s38
	;; [unrolled: 1-line block ×3, first 2 shown]
	s_sub_u32 s16, s16, s13
	s_subb_u32 s17, s17, s15
	s_or_b32 s15, s14, 0x80000000
	s_lshl_b64 s[16:17], s[16:17], 1
	v_mov_b32_e32 v9, s12
	s_or_b32 s16, s16, 1
	s_delay_alu instid0(SALU_CYCLE_1) | instskip(NEXT) | instid1(VALU_DEP_1)
	v_cmp_lt_u64_e64 s13, s[16:17], s[38:39]
	s_and_b32 s13, s13, exec_lo
	s_cselect_b32 s13, s14, s15
	s_cselect_b32 s14, 0, s38
	;; [unrolled: 1-line block ×3, first 2 shown]
	s_sub_u32 s14, s16, s14
	s_subb_u32 s15, s17, s15
	s_or_b32 s17, s13, 2.0
	s_lshl_b64 s[14:15], s[14:15], 1
	s_delay_alu instid0(SALU_CYCLE_1) | instskip(NEXT) | instid1(SALU_CYCLE_1)
	s_or_b32 s14, s14, 1
	v_cmp_lt_u64_e64 s16, s[14:15], s[38:39]
	s_delay_alu instid0(VALU_DEP_1)
	s_and_b32 s16, s16, exec_lo
	s_cselect_b32 s16, 0, s38
	s_cselect_b32 s13, s13, s17
	s_cselect_b32 s17, 0, 0
	s_sub_u32 s14, s14, s16
	s_subb_u32 s15, s15, s17
	s_or_b32 s17, s13, 0x20000000
	s_lshl_b64 s[14:15], s[14:15], 1
	s_delay_alu instid0(SALU_CYCLE_1) | instskip(NEXT) | instid1(SALU_CYCLE_1)
	s_or_b32 s14, s14, 1
	v_cmp_lt_u64_e64 s16, s[14:15], s[38:39]
	s_delay_alu instid0(VALU_DEP_1)
	s_and_b32 s16, s16, exec_lo
	s_cselect_b32 s16, 0, s38
	s_cselect_b32 s13, s13, s17
	s_cselect_b32 s17, 0, 0
	s_sub_u32 s14, s14, s16
	s_subb_u32 s15, s15, s17
	s_or_b32 s17, s13, 0x10000000
	;; [unrolled: 12-line block ×29, first 2 shown]
	s_lshl_b64 s[14:15], s[14:15], 1
	s_delay_alu instid0(SALU_CYCLE_1) | instskip(NEXT) | instid1(SALU_CYCLE_1)
	s_or_b32 s14, s14, 1
	v_cmp_lt_u64_e64 s16, s[14:15], s[38:39]
	s_delay_alu instid0(VALU_DEP_1)
	s_and_b32 s16, s16, exec_lo
	s_cselect_b32 s16, 0, s38
	s_cselect_b32 s13, s13, s17
	;; [unrolled: 1-line block ×3, first 2 shown]
	s_sub_u32 s14, s14, s16
	s_subb_u32 s15, s15, s17
	s_delay_alu instid0(SALU_CYCLE_1) | instskip(NEXT) | instid1(SALU_CYCLE_1)
	s_lshl_b64 s[14:15], s[14:15], 1
	s_or_b32 s14, s14, 1
	s_delay_alu instid0(SALU_CYCLE_1) | instskip(NEXT) | instid1(VALU_DEP_1)
	v_cmp_ge_u64_e64 s14, s[14:15], s[38:39]
	v_cndmask_b32_e64 v2, 0, 1, s14
	s_delay_alu instid0(VALU_DEP_1)
	v_or_b32_e32 v8, s13, v2
.LBB4_725:                              ;   in Loop: Header=BB4_568 Depth=2
	v_ashrrev_i32_e32 v2, 31, v53
	s_mov_b32 s12, exec_lo
	s_delay_alu instid0(VALU_DEP_1) | instskip(NEXT) | instid1(VALU_DEP_1)
	v_lshrrev_b32_e32 v2, 22, v2
	v_add_nc_u32_e32 v2, v53, v2
	s_delay_alu instid0(VALU_DEP_1) | instskip(NEXT) | instid1(VALU_DEP_1)
	v_ashrrev_i32_e32 v68, 10, v2
	v_sub_nc_u32_e32 v70, v68, v87
	s_delay_alu instid0(VALU_DEP_1)
	v_cmpx_lt_i32_e32 0, v70
	s_cbranch_execz .LBB4_730
; %bb.726:                              ;   in Loop: Header=BB4_568 Depth=2
	s_cbranch_execnz .LBB4_1813
; %bb.727:                              ;   in Loop: Header=BB4_568 Depth=2
	ds_load_b128 v[64:67], v0
	ds_load_b64 v[80:81], v0
	s_cmp_lt_i32 s30, 0
	s_mov_b32 s20, 0
	s_cselect_b32 s21, -1, 0
	s_waitcnt lgkmcnt(1)
	v_add_co_u32 v10, vcc_lo, v64, v119
	v_add_co_ci_u32_e32 v11, vcc_lo, v65, v128, vcc_lo
	v_add_co_u32 v64, vcc_lo, v66, v119
	v_add_co_ci_u32_e32 v65, vcc_lo, v67, v128, vcc_lo
	s_waitcnt lgkmcnt(0)
	v_add_co_u32 v66, vcc_lo, v80, v119
	v_add_co_ci_u32_e32 v67, vcc_lo, v81, v128, vcc_lo
.LBB4_728:                              ;   Parent Loop BB4_55 Depth=1
                                        ;     Parent Loop BB4_568 Depth=2
                                        ; =>    This Inner Loop Header: Depth=3
	global_load_b128 v[80:83], v[64:65], off slc dlc
	s_clause 0x1
	global_load_b128 v[144:147], v[10:11], off slc dlc
	global_load_b128 v[148:151], v[10:11], off offset:512 slc dlc
	global_load_b128 v[160:163], v[64:65], off offset:512 slc dlc
	v_sub_nc_u32_e32 v70, v70, v86
	v_add_co_u32 v10, vcc_lo, v10, v129
	v_add_co_ci_u32_e32 v11, vcc_lo, v11, v130, vcc_lo
	v_add_co_u32 v64, vcc_lo, v64, v129
	v_add_co_ci_u32_e32 v65, vcc_lo, v65, v130, vcc_lo
	v_cmp_gt_i32_e32 vcc_lo, 1, v70
	s_waitcnt vmcnt(2)
	v_add_co_u32 v80, s13, v80, v144
	s_delay_alu instid0(VALU_DEP_1) | instskip(SKIP_1) | instid1(VALU_DEP_1)
	v_add_co_ci_u32_e64 v81, s13, v81, v145, s13
	v_add_co_u32 v82, s13, v82, v146
	v_add_co_ci_u32_e64 v83, s13, v83, v147, s13
	s_waitcnt vmcnt(0)
	v_add_co_u32 v144, s13, v160, v148
	s_delay_alu instid0(VALU_DEP_1) | instskip(SKIP_1) | instid1(VALU_DEP_1)
	v_add_co_ci_u32_e64 v145, s13, v161, v149, s13
	v_add_co_u32 v146, s13, v162, v150
	v_add_co_ci_u32_e64 v147, s13, v163, v151, s13
	s_delay_alu instid0(VALU_DEP_4) | instskip(NEXT) | instid1(VALU_DEP_1)
	v_sub_co_u32 v149, s16, 0, v144
	v_sub_co_ci_u32_e64 v150, s16, 0, v145, s16
	v_cmp_gt_i64_e64 s13, 0, v[80:81]
	s_delay_alu instid0(VALU_DEP_4) | instskip(SKIP_4) | instid1(VALU_DEP_4)
	v_cmp_gt_i64_e64 s16, 0, v[146:147]
	v_sub_co_u32 v151, s17, 0, v146
	v_sub_co_u32 v2, s14, 0, v80
	v_sub_co_ci_u32_e64 v160, s17, 0, v147, s17
	s_and_b32 s13, s21, s13
	s_and_b32 s16, s21, s16
	v_sub_co_ci_u32_e64 v69, s14, 0, v81, s14
	s_delay_alu instid0(VALU_DEP_2) | instskip(SKIP_2) | instid1(VALU_DEP_4)
	v_cndmask_b32_e64 v147, v147, v160, s16
	v_cndmask_b32_e64 v160, v80, v2, s13
	v_cmp_gt_i64_e64 s14, 0, v[82:83]
	v_cndmask_b32_e64 v161, v81, v69, s13
	v_sub_co_u32 v133, s15, 0, v82
	s_delay_alu instid0(VALU_DEP_4) | instskip(SKIP_4) | instid1(VALU_DEP_3)
	v_mul_hi_u32 v2, v160, v8
	v_sub_co_ci_u32_e64 v148, s15, 0, v83, s15
	s_and_b32 s14, s21, s14
	v_cmp_gt_i64_e64 s15, 0, v[144:145]
	v_cndmask_b32_e64 v162, v82, v133, s14
	v_cndmask_b32_e64 v148, v83, v148, s14
	;; [unrolled: 1-line block ×3, first 2 shown]
	v_mad_u64_u32 v[80:81], null, v161, v8, v[2:3]
	v_mov_b32_e32 v135, v3
	v_mov_b32_e32 v134, v3
	s_and_b32 s15, s21, s15
	s_or_b32 s20, vcc_lo, s20
	v_cndmask_b32_e64 v149, v144, v149, s15
	v_cndmask_b32_e64 v150, v145, v150, s15
	v_dual_mov_b32 v133, v81 :: v_dual_mov_b32 v2, v80
	s_delay_alu instid0(VALU_DEP_1) | instskip(NEXT) | instid1(VALU_DEP_2)
	v_mad_u64_u32 v[82:83], null, v161, v9, v[133:134]
	v_mad_u64_u32 v[80:81], null, v160, v9, v[2:3]
	v_mul_hi_u32 v2, v162, v8
	s_delay_alu instid0(VALU_DEP_2) | instskip(NEXT) | instid1(VALU_DEP_2)
	v_dual_mov_b32 v164, v3 :: v_dual_mov_b32 v69, v81
	v_mad_u64_u32 v[80:81], null, v148, v8, v[2:3]
	v_mov_b32_e32 v165, v3
	s_delay_alu instid0(VALU_DEP_3) | instskip(NEXT) | instid1(VALU_DEP_1)
	v_add_co_u32 v151, s17, v82, v69
	v_add_co_ci_u32_e64 v166, s17, 0, v83, s17
	s_delay_alu instid0(VALU_DEP_4) | instskip(SKIP_1) | instid1(VALU_DEP_4)
	v_mov_b32_e32 v2, v80
	v_mov_b32_e32 v134, v81
	v_mad_u64_u32 v[80:81], null, v151, s38, 0
	s_delay_alu instid0(VALU_DEP_3) | instskip(SKIP_1) | instid1(VALU_DEP_3)
	v_mad_u64_u32 v[82:83], null, v162, v9, v[2:3]
	v_mul_hi_u32 v2, v149, v8
	v_mov_b32_e32 v69, v81
	s_delay_alu instid0(VALU_DEP_2) | instskip(NEXT) | instid1(VALU_DEP_1)
	v_mad_u64_u32 v[81:82], null, v150, v8, v[2:3]
	v_mov_b32_e32 v163, v82
	v_mad_u64_u32 v[144:145], null, v148, v9, v[134:135]
	s_delay_alu instid0(VALU_DEP_4) | instskip(NEXT) | instid1(VALU_DEP_4)
	v_mad_u64_u32 v[133:134], null, v166, s38, v[69:70]
	v_mov_b32_e32 v2, v81
	s_delay_alu instid0(VALU_DEP_3) | instskip(NEXT) | instid1(VALU_DEP_3)
	v_add_co_u32 v167, s17, v144, v83
	v_mov_b32_e32 v69, v133
	v_add_co_ci_u32_e64 v176, s17, 0, v145, s17
	v_sub_co_u32 v133, s17, v160, v80
	v_mad_u64_u32 v[134:135], null, v149, v9, v[2:3]
	s_delay_alu instid0(VALU_DEP_4) | instskip(SKIP_2) | instid1(VALU_DEP_3)
	v_sub_co_ci_u32_e64 v134, s17, v161, v69, s17
	v_mad_u64_u32 v[81:82], null, v167, s38, 0
	v_mul_hi_u32 v2, v146, v8
	v_cmp_le_u64_e64 s17, s[38:39], v[133:134]
	v_mad_u64_u32 v[144:145], null, v150, v9, v[163:164]
	s_delay_alu instid0(VALU_DEP_4) | instskip(NEXT) | instid1(VALU_DEP_3)
	v_mov_b32_e32 v69, v82
	v_cndmask_b32_e64 v80, 0, 1, s17
	v_mad_u64_u32 v[82:83], null, v147, v8, v[2:3]
	s_delay_alu instid0(VALU_DEP_3) | instskip(NEXT) | instid1(VALU_DEP_3)
	v_mad_u64_u32 v[133:134], null, v176, s38, v[69:70]
	v_add_co_u32 v69, s17, v151, v80
	s_delay_alu instid0(VALU_DEP_1) | instskip(NEXT) | instid1(VALU_DEP_4)
	v_add_co_ci_u32_e64 v80, s17, 0, v166, s17
	v_mov_b32_e32 v164, v83
	v_add_co_u32 v151, s17, v144, v135
	v_mov_b32_e32 v2, v82
	v_add_co_ci_u32_e64 v160, s17, 0, v145, s17
	s_delay_alu instid0(VALU_DEP_3) | instskip(NEXT) | instid1(VALU_DEP_3)
	v_mad_u64_u32 v[82:83], null, v151, s38, 0
	v_mad_u64_u32 v[134:135], null, v146, v9, v[2:3]
	v_sub_co_u32 v161, s17, 0, v69
	s_delay_alu instid0(VALU_DEP_1) | instskip(SKIP_2) | instid1(VALU_DEP_3)
	v_sub_co_ci_u32_e64 v163, s17, 0, v80, s17
	v_mov_b32_e32 v166, v133
	v_sub_co_u32 v133, s17, v162, v81
	v_cndmask_b32_e64 v81, v80, v163, s13
	v_cndmask_b32_e64 v80, v69, v161, s13
	v_mov_b32_e32 v2, v83
	v_mov_b32_e32 v83, v135
	v_sub_co_ci_u32_e64 v134, s13, v148, v166, s17
	v_mad_u64_u32 v[144:145], null, v147, v9, v[164:165]
	s_delay_alu instid0(VALU_DEP_2) | instskip(SKIP_1) | instid1(VALU_DEP_2)
	v_cmp_le_u64_e64 s13, s[38:39], v[133:134]
	v_mad_u64_u32 v[133:134], null, v160, s38, v[2:3]
	v_cndmask_b32_e64 v69, 0, 1, s13
	s_delay_alu instid0(VALU_DEP_1) | instskip(NEXT) | instid1(VALU_DEP_1)
	v_add_co_u32 v2, s13, v167, v69
	v_add_co_ci_u32_e64 v69, s13, 0, v176, s13
	v_add_co_u32 v148, s13, v144, v83
	s_delay_alu instid0(VALU_DEP_1) | instskip(SKIP_2) | instid1(VALU_DEP_1)
	v_add_co_ci_u32_e64 v161, s13, 0, v145, s13
	v_mov_b32_e32 v145, v133
	v_sub_co_u32 v135, s13, 0, v2
	v_sub_co_ci_u32_e64 v83, s13, 0, v69, s13
	v_sub_co_u32 v144, s13, v149, v82
	s_delay_alu instid0(VALU_DEP_1) | instskip(SKIP_1) | instid1(VALU_DEP_4)
	v_sub_co_ci_u32_e64 v145, s13, v150, v145, s13
	v_mad_u64_u32 v[133:134], null, v148, s38, 0
	v_cndmask_b32_e64 v83, v69, v83, s14
	s_delay_alu instid0(VALU_DEP_3) | instskip(SKIP_1) | instid1(VALU_DEP_4)
	v_cmp_le_u64_e64 s13, s[38:39], v[144:145]
	v_cndmask_b32_e64 v82, v2, v135, s14
	v_mov_b32_e32 v2, v134
	s_delay_alu instid0(VALU_DEP_3) | instskip(NEXT) | instid1(VALU_DEP_2)
	v_cndmask_b32_e64 v69, 0, 1, s13
	v_mad_u64_u32 v[134:135], null, v161, s38, v[2:3]
	s_delay_alu instid0(VALU_DEP_2) | instskip(NEXT) | instid1(VALU_DEP_1)
	v_add_co_u32 v2, s13, v151, v69
	v_add_co_ci_u32_e64 v69, s13, 0, v160, s13
	s_delay_alu instid0(VALU_DEP_2) | instskip(NEXT) | instid1(VALU_DEP_1)
	v_sub_co_u32 v135, s13, 0, v2
	v_sub_co_ci_u32_e64 v144, s13, 0, v69, s13
	v_sub_co_u32 v133, s13, v146, v133
	s_delay_alu instid0(VALU_DEP_1) | instskip(NEXT) | instid1(VALU_DEP_3)
	v_sub_co_ci_u32_e64 v134, s13, v147, v134, s13
	v_cndmask_b32_e64 v145, v69, v144, s15
	v_cndmask_b32_e64 v144, v2, v135, s15
	s_delay_alu instid0(VALU_DEP_3) | instskip(NEXT) | instid1(VALU_DEP_1)
	v_cmp_le_u64_e64 s13, s[38:39], v[133:134]
	v_cndmask_b32_e64 v2, 0, 1, s13
	s_delay_alu instid0(VALU_DEP_1) | instskip(NEXT) | instid1(VALU_DEP_1)
	v_add_co_u32 v2, s13, v148, v2
	v_add_co_ci_u32_e64 v69, s13, 0, v161, s13
	s_delay_alu instid0(VALU_DEP_2) | instskip(NEXT) | instid1(VALU_DEP_1)
	v_sub_co_u32 v133, s13, 0, v2
	v_sub_co_ci_u32_e64 v134, s13, 0, v69, s13
	s_delay_alu instid0(VALU_DEP_2) | instskip(NEXT) | instid1(VALU_DEP_2)
	v_cndmask_b32_e64 v146, v2, v133, s16
	v_cndmask_b32_e64 v147, v69, v134, s16
	s_clause 0x1
	global_store_b128 v[66:67], v[80:83], off glc slc dlc
	global_store_b128 v[66:67], v[144:147], off offset:512 glc slc dlc
	v_add_co_u32 v66, s13, v66, v129
	s_delay_alu instid0(VALU_DEP_1)
	v_add_co_ci_u32_e64 v67, s13, v67, v130, s13
	s_and_not1_b32 exec_lo, exec_lo, s20
	s_cbranch_execnz .LBB4_728
; %bb.729:                              ;   in Loop: Header=BB4_568 Depth=2
	s_or_b32 exec_lo, exec_lo, s20
.LBB4_730:                              ;   in Loop: Header=BB4_568 Depth=2
	s_delay_alu instid0(SALU_CYCLE_1) | instskip(SKIP_2) | instid1(VALU_DEP_1)
	s_or_b32 exec_lo, exec_lo, s12
	v_lshlrev_b32_e32 v80, 10, v68
	s_mov_b32 s20, exec_lo
                                        ; implicit-def: $vgpr68
                                        ; implicit-def: $vgpr69
                                        ; implicit-def: $sgpr16_sgpr17
                                        ; implicit-def: $vgpr2
	v_cmpx_ne_u32_e64 v53, v80
	s_cbranch_execz .LBB4_744
; %bb.731:                              ;   in Loop: Header=BB4_568 Depth=2
	v_mov_b32_e32 v8, -1
	v_mov_b32_e32 v9, -1
	s_cmp_lt_i32 s38, 1
	s_cbranch_scc1 .LBB4_736
; %bb.732:                              ;   in Loop: Header=BB4_568 Depth=2
	s_cmp_lg_u32 s38, 1
	s_cbranch_scc1 .LBB4_734
; %bb.733:                              ;   in Loop: Header=BB4_568 Depth=2
	v_readlane_b32 s12, v42, 1
	v_readlane_b32 s13, v42, 2
	s_mov_b32 s14, s39
	s_mov_b64 s[16:17], 1
	s_delay_alu instid0(VALU_DEP_1)
	s_mov_b32 s15, s13
	v_writelane_b32 v42, s12, 1
	v_writelane_b32 v42, s13, 2
	s_branch .LBB4_735
.LBB4_734:                              ;   in Loop: Header=BB4_568 Depth=2
	s_mov_b64 s[16:17], 3
	s_mov_b64 s[14:15], 0
.LBB4_735:                              ;   in Loop: Header=BB4_568 Depth=2
	v_cmp_lt_u64_e64 s12, s[16:17], s[38:39]
	s_or_b32 s13, s15, 2.0
	s_delay_alu instid0(VALU_DEP_1)
	s_and_b32 s12, s12, exec_lo
	s_cselect_b32 s12, 0, s38
	s_cselect_b32 s15, s15, s13
	s_cselect_b32 s13, 0, 0
	s_sub_u32 s12, s16, s12
	s_subb_u32 s13, s17, s13
	s_or_b32 s17, s15, 0x20000000
	s_lshl_b64 s[12:13], s[12:13], 1
	s_delay_alu instid0(SALU_CYCLE_1) | instskip(NEXT) | instid1(SALU_CYCLE_1)
	s_or_b32 s12, s12, 1
	v_cmp_lt_u64_e64 s16, s[12:13], s[38:39]
	s_delay_alu instid0(VALU_DEP_1)
	s_and_b32 s16, s16, exec_lo
	s_cselect_b32 s16, 0, s38
	s_cselect_b32 s15, s15, s17
	s_cselect_b32 s17, 0, 0
	s_sub_u32 s12, s12, s16
	s_subb_u32 s13, s13, s17
	s_or_b32 s17, s15, 0x10000000
	s_lshl_b64 s[12:13], s[12:13], 1
	s_delay_alu instid0(SALU_CYCLE_1) | instskip(NEXT) | instid1(SALU_CYCLE_1)
	s_or_b32 s12, s12, 1
	v_cmp_lt_u64_e64 s16, s[12:13], s[38:39]
	;; [unrolled: 12-line block ×29, first 2 shown]
	s_delay_alu instid0(VALU_DEP_1)
	s_and_b32 s16, s16, exec_lo
	s_cselect_b32 s16, 0, s38
	s_cselect_b32 s15, s15, s17
	;; [unrolled: 1-line block ×3, first 2 shown]
	s_sub_u32 s12, s12, s16
	s_subb_u32 s13, s13, s17
	s_delay_alu instid0(SALU_CYCLE_1) | instskip(SKIP_2) | instid1(SALU_CYCLE_1)
	s_lshl_b64 s[16:17], s[12:13], 1
	s_or_b32 s13, s15, 1
	s_or_b32 s16, s16, 1
	v_cmp_lt_u64_e64 s12, s[16:17], s[38:39]
	s_delay_alu instid0(VALU_DEP_1)
	s_and_b32 s12, s12, exec_lo
	s_cselect_b32 s12, s15, s13
	s_cselect_b32 s13, 0, s38
	;; [unrolled: 1-line block ×3, first 2 shown]
	s_sub_u32 s16, s16, s13
	s_subb_u32 s17, s17, s15
	s_or_b32 s15, s14, 0x80000000
	s_lshl_b64 s[16:17], s[16:17], 1
	v_mov_b32_e32 v9, s12
	s_or_b32 s16, s16, 1
	s_delay_alu instid0(SALU_CYCLE_1) | instskip(NEXT) | instid1(VALU_DEP_1)
	v_cmp_lt_u64_e64 s13, s[16:17], s[38:39]
	s_and_b32 s13, s13, exec_lo
	s_cselect_b32 s13, s14, s15
	s_cselect_b32 s14, 0, s38
	;; [unrolled: 1-line block ×3, first 2 shown]
	s_sub_u32 s14, s16, s14
	s_subb_u32 s15, s17, s15
	s_or_b32 s17, s13, 2.0
	s_lshl_b64 s[14:15], s[14:15], 1
	s_delay_alu instid0(SALU_CYCLE_1) | instskip(NEXT) | instid1(SALU_CYCLE_1)
	s_or_b32 s14, s14, 1
	v_cmp_lt_u64_e64 s16, s[14:15], s[38:39]
	s_delay_alu instid0(VALU_DEP_1)
	s_and_b32 s16, s16, exec_lo
	s_cselect_b32 s16, 0, s38
	s_cselect_b32 s13, s13, s17
	s_cselect_b32 s17, 0, 0
	s_sub_u32 s14, s14, s16
	s_subb_u32 s15, s15, s17
	s_or_b32 s17, s13, 0x20000000
	s_lshl_b64 s[14:15], s[14:15], 1
	s_delay_alu instid0(SALU_CYCLE_1) | instskip(NEXT) | instid1(SALU_CYCLE_1)
	s_or_b32 s14, s14, 1
	v_cmp_lt_u64_e64 s16, s[14:15], s[38:39]
	s_delay_alu instid0(VALU_DEP_1)
	s_and_b32 s16, s16, exec_lo
	s_cselect_b32 s16, 0, s38
	s_cselect_b32 s13, s13, s17
	s_cselect_b32 s17, 0, 0
	s_sub_u32 s14, s14, s16
	s_subb_u32 s15, s15, s17
	s_or_b32 s17, s13, 0x10000000
	;; [unrolled: 12-line block ×29, first 2 shown]
	s_lshl_b64 s[14:15], s[14:15], 1
	s_delay_alu instid0(SALU_CYCLE_1) | instskip(NEXT) | instid1(SALU_CYCLE_1)
	s_or_b32 s14, s14, 1
	v_cmp_lt_u64_e64 s16, s[14:15], s[38:39]
	s_delay_alu instid0(VALU_DEP_1)
	s_and_b32 s16, s16, exec_lo
	s_cselect_b32 s16, 0, s38
	s_cselect_b32 s13, s13, s17
	;; [unrolled: 1-line block ×3, first 2 shown]
	s_sub_u32 s14, s14, s16
	s_subb_u32 s15, s15, s17
	s_delay_alu instid0(SALU_CYCLE_1) | instskip(NEXT) | instid1(SALU_CYCLE_1)
	s_lshl_b64 s[14:15], s[14:15], 1
	s_or_b32 s14, s14, 1
	s_delay_alu instid0(SALU_CYCLE_1) | instskip(NEXT) | instid1(VALU_DEP_1)
	v_cmp_ge_u64_e64 s14, s[14:15], s[38:39]
	v_cndmask_b32_e64 v2, 0, 1, s14
	s_delay_alu instid0(VALU_DEP_1)
	v_or_b32_e32 v8, s13, v2
.LBB4_736:                              ;   in Loop: Header=BB4_568 Depth=2
	v_lshlrev_b32_e32 v2, 5, v70
	v_sub_nc_u32_e32 v11, v53, v80
	s_mov_b32 s12, exec_lo
	s_delay_alu instid0(VALU_DEP_2) | instskip(NEXT) | instid1(VALU_DEP_2)
	v_sub_nc_u32_e32 v2, v96, v2
	v_ashrrev_i32_e32 v64, 31, v11
	s_delay_alu instid0(VALU_DEP_2) | instskip(NEXT) | instid1(VALU_DEP_2)
	v_ashrrev_i32_e32 v10, 31, v2
	v_lshrrev_b32_e32 v64, 23, v64
	s_delay_alu instid0(VALU_DEP_2) | instskip(NEXT) | instid1(VALU_DEP_2)
	v_lshrrev_b32_e32 v10, 27, v10
	v_add_nc_u32_e32 v64, v11, v64
	s_delay_alu instid0(VALU_DEP_2) | instskip(NEXT) | instid1(VALU_DEP_2)
	v_add_nc_u32_e32 v10, v2, v10
	v_and_b32_e32 v70, 0xfffffe00, v64
	v_ashrrev_i32_e32 v64, 9, v64
	s_delay_alu instid0(VALU_DEP_3) | instskip(NEXT) | instid1(VALU_DEP_3)
	v_and_b32_e32 v65, 0xffffffe0, v10
	v_sub_nc_u32_e32 v82, v11, v70
	v_ashrrev_i32_e32 v10, 5, v10
	s_delay_alu instid0(VALU_DEP_3) | instskip(NEXT) | instid1(VALU_DEP_3)
	v_sub_nc_u32_e32 v81, v2, v65
	v_cmp_lt_i32_e32 vcc_lo, 15, v82
	s_delay_alu instid0(VALU_DEP_2) | instskip(SKIP_1) | instid1(VALU_DEP_2)
	v_lshlrev_b32_e32 v2, 4, v81
	v_add_co_ci_u32_e64 v64, s13, 0, v64, vcc_lo
	v_lshl_add_u32 v2, v10, 9, v2
	s_delay_alu instid0(VALU_DEP_2) | instskip(NEXT) | instid1(VALU_DEP_2)
	v_sub_nc_u32_e32 v83, v64, v10
	v_sub_nc_u32_e32 v68, v11, v2
	s_delay_alu instid0(VALU_DEP_1)
	v_cmpx_lt_i32_e32 15, v68
	s_cbranch_execz .LBB4_741
; %bb.737:                              ;   in Loop: Header=BB4_568 Depth=2
	s_cbranch_execnz .LBB4_1881
; %bb.738:                              ;   in Loop: Header=BB4_568 Depth=2
	ds_load_b128 v[64:67], v0
	ds_load_b64 v[133:134], v0
	v_add_nc_u32_e32 v2, v2, v80
	s_cmp_lt_i32 s30, 0
	s_mov_b32 s17, 0
	s_cselect_b32 s21, -1, 0
	s_delay_alu instid0(VALU_DEP_1) | instskip(SKIP_2) | instid1(VALU_DEP_1)
	v_ashrrev_i32_e32 v69, 31, v2
	s_waitcnt lgkmcnt(1)
	v_add_co_u32 v10, s13, v64, v2
	v_add_co_ci_u32_e64 v11, s13, v65, v69, s13
	v_add_co_u32 v64, s13, v66, v2
	s_delay_alu instid0(VALU_DEP_1) | instskip(SKIP_2) | instid1(VALU_DEP_1)
	v_add_co_ci_u32_e64 v65, s13, v67, v69, s13
	s_waitcnt lgkmcnt(0)
	v_add_co_u32 v66, s13, v133, v2
	v_add_co_ci_u32_e64 v67, s13, v134, v69, s13
.LBB4_739:                              ;   Parent Loop BB4_55 Depth=1
                                        ;     Parent Loop BB4_568 Depth=2
                                        ; =>    This Inner Loop Header: Depth=3
	global_load_b128 v[144:147], v[10:11], off slc dlc
	global_load_b128 v[148:151], v[64:65], off slc dlc
	v_add_co_u32 v10, s13, v10, v114
	v_sub_nc_u32_e32 v68, v68, v98
	v_add_co_ci_u32_e64 v11, s13, v11, v115, s13
	v_add_co_u32 v64, s13, v64, v114
	s_delay_alu instid0(VALU_DEP_1) | instskip(NEXT) | instid1(VALU_DEP_4)
	v_add_co_ci_u32_e64 v65, s13, v65, v115, s13
	v_cmp_gt_i32_e64 s13, 16, v68
	v_sub_nc_u32_e32 v83, v83, v86
	s_waitcnt vmcnt(0)
	v_add_co_u32 v144, s14, v148, v144
	s_delay_alu instid0(VALU_DEP_1) | instskip(SKIP_1) | instid1(VALU_DEP_1)
	v_add_co_ci_u32_e64 v145, s14, v149, v145, s14
	v_add_co_u32 v146, s14, v150, v146
	v_add_co_ci_u32_e64 v147, s14, v151, v147, s14
	s_delay_alu instid0(VALU_DEP_3) | instskip(SKIP_1) | instid1(VALU_DEP_1)
	v_cmp_gt_i64_e64 s14, 0, v[144:145]
	v_sub_co_u32 v2, s15, 0, v144
	v_sub_co_ci_u32_e64 v69, s15, 0, v145, s15
	s_delay_alu instid0(VALU_DEP_4) | instskip(NEXT) | instid1(VALU_DEP_4)
	v_cmp_gt_i64_e64 s15, 0, v[146:147]
	s_and_b32 s14, s21, s14
	v_sub_co_u32 v133, s16, 0, v146
	v_cndmask_b32_e64 v151, v144, v2, s14
	v_cndmask_b32_e64 v69, v145, v69, s14
	s_delay_alu instid0(VALU_DEP_4) | instskip(SKIP_1) | instid1(VALU_DEP_3)
	s_and_b32 s15, s21, s15
	v_sub_co_ci_u32_e64 v148, s16, 0, v147, s16
	v_mul_hi_u32 v2, v151, v8
	v_cndmask_b32_e64 v160, v146, v133, s15
	s_or_b32 s17, s13, s17
	s_delay_alu instid0(VALU_DEP_3) | instskip(NEXT) | instid1(VALU_DEP_3)
	v_cndmask_b32_e64 v150, v147, v148, s15
	v_mad_u64_u32 v[144:145], null, v69, v8, v[2:3]
	v_mov_b32_e32 v135, v3
	s_delay_alu instid0(VALU_DEP_2) | instskip(NEXT) | instid1(VALU_DEP_3)
	v_dual_mov_b32 v134, v3 :: v_dual_mov_b32 v133, v145
	v_mov_b32_e32 v2, v144
	s_delay_alu instid0(VALU_DEP_2) | instskip(NEXT) | instid1(VALU_DEP_2)
	v_mad_u64_u32 v[146:147], null, v69, v9, v[133:134]
	v_mad_u64_u32 v[144:145], null, v151, v9, v[2:3]
	v_mul_hi_u32 v2, v160, v8
	s_delay_alu instid0(VALU_DEP_2) | instskip(NEXT) | instid1(VALU_DEP_2)
	v_mov_b32_e32 v144, v145
	v_mad_u64_u32 v[133:134], null, v150, v8, v[2:3]
	s_delay_alu instid0(VALU_DEP_2) | instskip(NEXT) | instid1(VALU_DEP_1)
	v_add_co_u32 v161, s16, v146, v144
	v_add_co_ci_u32_e64 v162, s16, 0, v147, s16
	s_delay_alu instid0(VALU_DEP_2) | instskip(NEXT) | instid1(VALU_DEP_4)
	v_mad_u64_u32 v[144:145], null, v161, s38, 0
	v_mov_b32_e32 v2, v133
	v_mad_u64_u32 v[148:149], null, v150, v9, v[134:135]
	s_delay_alu instid0(VALU_DEP_2) | instskip(NEXT) | instid1(VALU_DEP_4)
	v_mad_u64_u32 v[146:147], null, v160, v9, v[2:3]
	v_mov_b32_e32 v2, v145
	s_delay_alu instid0(VALU_DEP_1) | instskip(NEXT) | instid1(VALU_DEP_3)
	v_mad_u64_u32 v[133:134], null, v162, s38, v[2:3]
	v_mov_b32_e32 v135, v147
	s_delay_alu instid0(VALU_DEP_1) | instskip(NEXT) | instid1(VALU_DEP_3)
	v_add_co_u32 v146, s16, v148, v135
	v_mov_b32_e32 v2, v133
	v_add_co_ci_u32_e64 v147, s16, 0, v149, s16
	v_sub_co_u32 v144, s16, v151, v144
	s_delay_alu instid0(VALU_DEP_1) | instskip(SKIP_1) | instid1(VALU_DEP_2)
	v_sub_co_ci_u32_e64 v145, s16, v69, v2, s16
	v_mad_u64_u32 v[133:134], null, v146, s38, 0
	v_cmp_le_u64_e64 s16, s[38:39], v[144:145]
	s_delay_alu instid0(VALU_DEP_2) | instskip(NEXT) | instid1(VALU_DEP_2)
	v_mov_b32_e32 v2, v134
	v_cndmask_b32_e64 v69, 0, 1, s16
	s_delay_alu instid0(VALU_DEP_2) | instskip(NEXT) | instid1(VALU_DEP_2)
	v_mad_u64_u32 v[134:135], null, v147, s38, v[2:3]
	v_add_co_u32 v2, s16, v161, v69
	s_delay_alu instid0(VALU_DEP_1) | instskip(NEXT) | instid1(VALU_DEP_2)
	v_add_co_ci_u32_e64 v69, s16, 0, v162, s16
	v_sub_co_u32 v135, s16, 0, v2
	s_delay_alu instid0(VALU_DEP_1) | instskip(SKIP_1) | instid1(VALU_DEP_2)
	v_sub_co_ci_u32_e64 v144, s16, 0, v69, s16
	v_sub_co_u32 v133, s16, v160, v133
	v_cndmask_b32_e64 v145, v69, v144, s14
	s_delay_alu instid0(VALU_DEP_4) | instskip(SKIP_1) | instid1(VALU_DEP_1)
	v_cndmask_b32_e64 v144, v2, v135, s14
	v_sub_co_ci_u32_e64 v134, s14, v150, v134, s16
	v_cmp_le_u64_e64 s14, s[38:39], v[133:134]
	s_delay_alu instid0(VALU_DEP_1) | instskip(NEXT) | instid1(VALU_DEP_1)
	v_cndmask_b32_e64 v2, 0, 1, s14
	v_add_co_u32 v2, s14, v146, v2
	s_delay_alu instid0(VALU_DEP_1) | instskip(NEXT) | instid1(VALU_DEP_2)
	v_add_co_ci_u32_e64 v69, s14, 0, v147, s14
	v_sub_co_u32 v133, s14, 0, v2
	s_delay_alu instid0(VALU_DEP_1) | instskip(NEXT) | instid1(VALU_DEP_2)
	v_sub_co_ci_u32_e64 v134, s14, 0, v69, s14
	v_cndmask_b32_e64 v146, v2, v133, s15
	s_delay_alu instid0(VALU_DEP_2) | instskip(SKIP_2) | instid1(VALU_DEP_1)
	v_cndmask_b32_e64 v147, v69, v134, s15
	global_store_b128 v[66:67], v[144:147], off glc slc dlc
	v_add_co_u32 v66, s14, v66, v114
	v_add_co_ci_u32_e64 v67, s14, v67, v115, s14
	s_and_not1_b32 exec_lo, exec_lo, s17
	s_cbranch_execnz .LBB4_739
; %bb.740:                              ;   in Loop: Header=BB4_568 Depth=2
	s_or_b32 exec_lo, exec_lo, s17
.LBB4_741:                              ;   in Loop: Header=BB4_568 Depth=2
	s_delay_alu instid0(SALU_CYCLE_1) | instskip(SKIP_3) | instid1(VALU_DEP_1)
	s_or_b32 exec_lo, exec_lo, s12
	v_and_b32_e32 v8, 8, v53
	s_mov_b32 s12, s22
	s_mov_b32 s14, exec_lo
                                        ; implicit-def: $vgpr68
                                        ; implicit-def: $vgpr69
                                        ; implicit-def: $vgpr2
	v_cndmask_b32_e32 v53, v82, v8, vcc_lo
	s_delay_alu instid0(VALU_DEP_1)
	v_cmpx_ne_u32_e32 0, v53
	s_cbranch_execz .LBB4_743
; %bb.742:                              ;   in Loop: Header=BB4_568 Depth=2
	v_cmp_lt_i32_e64 s13, 0, v83
	v_sub_nc_u32_e32 v8, v82, v8
	s_or_b32 s12, s22, exec_lo
	s_delay_alu instid0(VALU_DEP_2) | instskip(NEXT) | instid1(VALU_DEP_2)
	v_cndmask_b32_e64 v2, 0, v86, s13
	v_cndmask_b32_e32 v8, 0, v8, vcc_lo
	s_delay_alu instid0(VALU_DEP_2) | instskip(NEXT) | instid1(VALU_DEP_2)
	v_sub_nc_u32_e32 v2, v2, v83
	v_add3_u32 v68, v70, v80, v8
	s_delay_alu instid0(VALU_DEP_2) | instskip(NEXT) | instid1(VALU_DEP_1)
	v_lshl_add_u32 v9, v2, 5, v81
	v_ashrrev_i32_e32 v2, 31, v9
	s_delay_alu instid0(VALU_DEP_1) | instskip(NEXT) | instid1(VALU_DEP_1)
	v_lshrrev_b32_e32 v2, 27, v2
	v_add_nc_u32_e32 v2, v9, v2
	s_delay_alu instid0(VALU_DEP_1) | instskip(SKIP_1) | instid1(VALU_DEP_2)
	v_and_b32_e32 v10, 0xffffffe0, v2
	v_ashrrev_i32_e32 v2, 5, v2
	v_sub_nc_u32_e32 v69, v9, v10
.LBB4_743:                              ;   in Loop: Header=BB4_568 Depth=2
	s_or_b32 exec_lo, exec_lo, s14
	s_delay_alu instid0(SALU_CYCLE_1)
	s_and_not1_b32 s13, s22, exec_lo
	s_and_b32 s12, s12, exec_lo
	s_mov_b64 s[16:17], s[38:39]
	s_or_b32 s22, s13, s12
.LBB4_744:                              ;   in Loop: Header=BB4_568 Depth=2
	s_or_b32 exec_lo, exec_lo, s20
.LBB4_745:                              ;   in Loop: Header=BB4_568 Depth=2
	s_and_saveexec_b32 s31, s22
	s_cbranch_execz .LBB4_767
; %bb.746:                              ;   in Loop: Header=BB4_568 Depth=2
	v_mov_b32_e32 v8, -1
	v_mov_b32_e32 v9, -1
	s_cmp_lt_i32 s38, 1
	s_cbranch_scc1 .LBB4_751
; %bb.747:                              ;   in Loop: Header=BB4_568 Depth=2
	s_cmp_lg_u32 s38, 1
	s_cbranch_scc1 .LBB4_749
; %bb.748:                              ;   in Loop: Header=BB4_568 Depth=2
	v_readlane_b32 s12, v42, 1
	v_readlane_b32 s13, v42, 2
	s_mov_b32 s14, s39
	s_mov_b64 s[22:23], 1
	s_delay_alu instid0(VALU_DEP_1)
	s_mov_b32 s15, s13
	v_writelane_b32 v42, s12, 1
	v_writelane_b32 v42, s13, 2
	s_branch .LBB4_750
.LBB4_749:                              ;   in Loop: Header=BB4_568 Depth=2
	s_mov_b64 s[22:23], 3
	s_mov_b64 s[14:15], 0
.LBB4_750:                              ;   in Loop: Header=BB4_568 Depth=2
	v_cmp_lt_u64_e64 s12, s[22:23], s[16:17]
	s_or_b32 s13, s15, 2.0
	s_delay_alu instid0(VALU_DEP_1)
	s_and_b32 s12, s12, exec_lo
	s_cselect_b32 s12, 0, s16
	s_cselect_b32 s15, s15, s13
	s_cselect_b32 s13, 0, s17
	s_sub_u32 s12, s22, s12
	s_subb_u32 s13, s23, s13
	s_or_b32 s19, s15, 0x20000000
	s_lshl_b64 s[12:13], s[12:13], 1
	s_delay_alu instid0(SALU_CYCLE_1) | instskip(NEXT) | instid1(SALU_CYCLE_1)
	s_or_b32 s12, s12, 1
	v_cmp_lt_u64_e64 s18, s[12:13], s[16:17]
	s_delay_alu instid0(VALU_DEP_1)
	s_and_b32 s18, s18, exec_lo
	s_cselect_b32 s18, 0, s16
	s_cselect_b32 s15, s15, s19
	s_cselect_b32 s19, 0, s17
	s_sub_u32 s12, s12, s18
	s_subb_u32 s13, s13, s19
	s_or_b32 s19, s15, 0x10000000
	s_lshl_b64 s[12:13], s[12:13], 1
	s_delay_alu instid0(SALU_CYCLE_1) | instskip(NEXT) | instid1(SALU_CYCLE_1)
	s_or_b32 s12, s12, 1
	v_cmp_lt_u64_e64 s18, s[12:13], s[16:17]
	s_delay_alu instid0(VALU_DEP_1)
	s_and_b32 s18, s18, exec_lo
	s_cselect_b32 s18, 0, s16
	s_cselect_b32 s15, s15, s19
	s_cselect_b32 s19, 0, s17
	s_sub_u32 s12, s12, s18
	s_subb_u32 s13, s13, s19
	s_or_b32 s19, s15, 0x8000000
	s_lshl_b64 s[12:13], s[12:13], 1
	s_delay_alu instid0(SALU_CYCLE_1) | instskip(NEXT) | instid1(SALU_CYCLE_1)
	s_or_b32 s12, s12, 1
	v_cmp_lt_u64_e64 s18, s[12:13], s[16:17]
	s_delay_alu instid0(VALU_DEP_1)
	s_and_b32 s18, s18, exec_lo
	s_cselect_b32 s18, 0, s16
	s_cselect_b32 s15, s15, s19
	s_cselect_b32 s19, 0, s17
	s_sub_u32 s12, s12, s18
	s_subb_u32 s13, s13, s19
	s_or_b32 s19, s15, 0x4000000
	s_lshl_b64 s[12:13], s[12:13], 1
	s_delay_alu instid0(SALU_CYCLE_1) | instskip(NEXT) | instid1(SALU_CYCLE_1)
	s_or_b32 s12, s12, 1
	v_cmp_lt_u64_e64 s18, s[12:13], s[16:17]
	s_delay_alu instid0(VALU_DEP_1)
	s_and_b32 s18, s18, exec_lo
	s_cselect_b32 s18, 0, s16
	s_cselect_b32 s15, s15, s19
	s_cselect_b32 s19, 0, s17
	s_sub_u32 s12, s12, s18
	s_subb_u32 s13, s13, s19
	s_or_b32 s19, s15, 0x2000000
	s_lshl_b64 s[12:13], s[12:13], 1
	s_delay_alu instid0(SALU_CYCLE_1) | instskip(NEXT) | instid1(SALU_CYCLE_1)
	s_or_b32 s12, s12, 1
	v_cmp_lt_u64_e64 s18, s[12:13], s[16:17]
	s_delay_alu instid0(VALU_DEP_1)
	s_and_b32 s18, s18, exec_lo
	s_cselect_b32 s18, 0, s16
	s_cselect_b32 s15, s15, s19
	s_cselect_b32 s19, 0, s17
	s_sub_u32 s12, s12, s18
	s_subb_u32 s13, s13, s19
	s_or_b32 s19, s15, 0x1000000
	s_lshl_b64 s[12:13], s[12:13], 1
	s_delay_alu instid0(SALU_CYCLE_1) | instskip(NEXT) | instid1(SALU_CYCLE_1)
	s_or_b32 s12, s12, 1
	v_cmp_lt_u64_e64 s18, s[12:13], s[16:17]
	s_delay_alu instid0(VALU_DEP_1)
	s_and_b32 s18, s18, exec_lo
	s_cselect_b32 s18, 0, s16
	s_cselect_b32 s15, s15, s19
	s_cselect_b32 s19, 0, s17
	s_sub_u32 s12, s12, s18
	s_subb_u32 s13, s13, s19
	s_or_b32 s19, s15, 0x800000
	s_lshl_b64 s[12:13], s[12:13], 1
	s_delay_alu instid0(SALU_CYCLE_1) | instskip(NEXT) | instid1(SALU_CYCLE_1)
	s_or_b32 s12, s12, 1
	v_cmp_lt_u64_e64 s18, s[12:13], s[16:17]
	s_delay_alu instid0(VALU_DEP_1)
	s_and_b32 s18, s18, exec_lo
	s_cselect_b32 s18, 0, s16
	s_cselect_b32 s15, s15, s19
	s_cselect_b32 s19, 0, s17
	s_sub_u32 s12, s12, s18
	s_subb_u32 s13, s13, s19
	s_or_b32 s19, s15, 0x400000
	s_lshl_b64 s[12:13], s[12:13], 1
	s_delay_alu instid0(SALU_CYCLE_1) | instskip(NEXT) | instid1(SALU_CYCLE_1)
	s_or_b32 s12, s12, 1
	v_cmp_lt_u64_e64 s18, s[12:13], s[16:17]
	s_delay_alu instid0(VALU_DEP_1)
	s_and_b32 s18, s18, exec_lo
	s_cselect_b32 s18, 0, s16
	s_cselect_b32 s15, s15, s19
	s_cselect_b32 s19, 0, s17
	s_sub_u32 s12, s12, s18
	s_subb_u32 s13, s13, s19
	s_or_b32 s19, s15, 0x200000
	s_lshl_b64 s[12:13], s[12:13], 1
	s_delay_alu instid0(SALU_CYCLE_1) | instskip(NEXT) | instid1(SALU_CYCLE_1)
	s_or_b32 s12, s12, 1
	v_cmp_lt_u64_e64 s18, s[12:13], s[16:17]
	s_delay_alu instid0(VALU_DEP_1)
	s_and_b32 s18, s18, exec_lo
	s_cselect_b32 s18, 0, s16
	s_cselect_b32 s15, s15, s19
	s_cselect_b32 s19, 0, s17
	s_sub_u32 s12, s12, s18
	s_subb_u32 s13, s13, s19
	s_or_b32 s19, s15, 0x100000
	s_lshl_b64 s[12:13], s[12:13], 1
	s_delay_alu instid0(SALU_CYCLE_1) | instskip(NEXT) | instid1(SALU_CYCLE_1)
	s_or_b32 s12, s12, 1
	v_cmp_lt_u64_e64 s18, s[12:13], s[16:17]
	s_delay_alu instid0(VALU_DEP_1)
	s_and_b32 s18, s18, exec_lo
	s_cselect_b32 s18, 0, s16
	s_cselect_b32 s15, s15, s19
	s_cselect_b32 s19, 0, s17
	s_sub_u32 s12, s12, s18
	s_subb_u32 s13, s13, s19
	s_or_b32 s19, s15, 0x80000
	s_lshl_b64 s[12:13], s[12:13], 1
	s_delay_alu instid0(SALU_CYCLE_1) | instskip(NEXT) | instid1(SALU_CYCLE_1)
	s_or_b32 s12, s12, 1
	v_cmp_lt_u64_e64 s18, s[12:13], s[16:17]
	s_delay_alu instid0(VALU_DEP_1)
	s_and_b32 s18, s18, exec_lo
	s_cselect_b32 s18, 0, s16
	s_cselect_b32 s15, s15, s19
	s_cselect_b32 s19, 0, s17
	s_sub_u32 s12, s12, s18
	s_subb_u32 s13, s13, s19
	s_or_b32 s19, s15, 0x40000
	s_lshl_b64 s[12:13], s[12:13], 1
	s_delay_alu instid0(SALU_CYCLE_1) | instskip(NEXT) | instid1(SALU_CYCLE_1)
	s_or_b32 s12, s12, 1
	v_cmp_lt_u64_e64 s18, s[12:13], s[16:17]
	s_delay_alu instid0(VALU_DEP_1)
	s_and_b32 s18, s18, exec_lo
	s_cselect_b32 s18, 0, s16
	s_cselect_b32 s15, s15, s19
	s_cselect_b32 s19, 0, s17
	s_sub_u32 s12, s12, s18
	s_subb_u32 s13, s13, s19
	s_or_b32 s19, s15, 0x20000
	s_lshl_b64 s[12:13], s[12:13], 1
	s_delay_alu instid0(SALU_CYCLE_1) | instskip(NEXT) | instid1(SALU_CYCLE_1)
	s_or_b32 s12, s12, 1
	v_cmp_lt_u64_e64 s18, s[12:13], s[16:17]
	s_delay_alu instid0(VALU_DEP_1)
	s_and_b32 s18, s18, exec_lo
	s_cselect_b32 s18, 0, s16
	s_cselect_b32 s15, s15, s19
	s_cselect_b32 s19, 0, s17
	s_sub_u32 s12, s12, s18
	s_subb_u32 s13, s13, s19
	s_or_b32 s19, s15, 0x10000
	s_lshl_b64 s[12:13], s[12:13], 1
	s_delay_alu instid0(SALU_CYCLE_1) | instskip(NEXT) | instid1(SALU_CYCLE_1)
	s_or_b32 s12, s12, 1
	v_cmp_lt_u64_e64 s18, s[12:13], s[16:17]
	s_delay_alu instid0(VALU_DEP_1)
	s_and_b32 s18, s18, exec_lo
	s_cselect_b32 s18, 0, s16
	s_cselect_b32 s15, s15, s19
	s_cselect_b32 s19, 0, s17
	s_sub_u32 s12, s12, s18
	s_subb_u32 s13, s13, s19
	s_or_b32 s19, s15, 0x8000
	s_lshl_b64 s[12:13], s[12:13], 1
	s_delay_alu instid0(SALU_CYCLE_1) | instskip(NEXT) | instid1(SALU_CYCLE_1)
	s_or_b32 s12, s12, 1
	v_cmp_lt_u64_e64 s18, s[12:13], s[16:17]
	s_delay_alu instid0(VALU_DEP_1)
	s_and_b32 s18, s18, exec_lo
	s_cselect_b32 s18, 0, s16
	s_cselect_b32 s15, s15, s19
	s_cselect_b32 s19, 0, s17
	s_sub_u32 s12, s12, s18
	s_subb_u32 s13, s13, s19
	s_or_b32 s19, s15, 0x4000
	s_lshl_b64 s[12:13], s[12:13], 1
	s_delay_alu instid0(SALU_CYCLE_1) | instskip(NEXT) | instid1(SALU_CYCLE_1)
	s_or_b32 s12, s12, 1
	v_cmp_lt_u64_e64 s18, s[12:13], s[16:17]
	s_delay_alu instid0(VALU_DEP_1)
	s_and_b32 s18, s18, exec_lo
	s_cselect_b32 s18, 0, s16
	s_cselect_b32 s15, s15, s19
	s_cselect_b32 s19, 0, s17
	s_sub_u32 s12, s12, s18
	s_subb_u32 s13, s13, s19
	s_or_b32 s19, s15, 0x2000
	s_lshl_b64 s[12:13], s[12:13], 1
	s_delay_alu instid0(SALU_CYCLE_1) | instskip(NEXT) | instid1(SALU_CYCLE_1)
	s_or_b32 s12, s12, 1
	v_cmp_lt_u64_e64 s18, s[12:13], s[16:17]
	s_delay_alu instid0(VALU_DEP_1)
	s_and_b32 s18, s18, exec_lo
	s_cselect_b32 s18, 0, s16
	s_cselect_b32 s15, s15, s19
	s_cselect_b32 s19, 0, s17
	s_sub_u32 s12, s12, s18
	s_subb_u32 s13, s13, s19
	s_or_b32 s19, s15, 0x1000
	s_lshl_b64 s[12:13], s[12:13], 1
	s_delay_alu instid0(SALU_CYCLE_1) | instskip(NEXT) | instid1(SALU_CYCLE_1)
	s_or_b32 s12, s12, 1
	v_cmp_lt_u64_e64 s18, s[12:13], s[16:17]
	s_delay_alu instid0(VALU_DEP_1)
	s_and_b32 s18, s18, exec_lo
	s_cselect_b32 s18, 0, s16
	s_cselect_b32 s15, s15, s19
	s_cselect_b32 s19, 0, s17
	s_sub_u32 s12, s12, s18
	s_subb_u32 s13, s13, s19
	s_or_b32 s19, s15, 0x800
	s_lshl_b64 s[12:13], s[12:13], 1
	s_delay_alu instid0(SALU_CYCLE_1) | instskip(NEXT) | instid1(SALU_CYCLE_1)
	s_or_b32 s12, s12, 1
	v_cmp_lt_u64_e64 s18, s[12:13], s[16:17]
	s_delay_alu instid0(VALU_DEP_1)
	s_and_b32 s18, s18, exec_lo
	s_cselect_b32 s18, 0, s16
	s_cselect_b32 s15, s15, s19
	s_cselect_b32 s19, 0, s17
	s_sub_u32 s12, s12, s18
	s_subb_u32 s13, s13, s19
	s_or_b32 s19, s15, 0x400
	s_lshl_b64 s[12:13], s[12:13], 1
	s_delay_alu instid0(SALU_CYCLE_1) | instskip(NEXT) | instid1(SALU_CYCLE_1)
	s_or_b32 s12, s12, 1
	v_cmp_lt_u64_e64 s18, s[12:13], s[16:17]
	s_delay_alu instid0(VALU_DEP_1)
	s_and_b32 s18, s18, exec_lo
	s_cselect_b32 s18, 0, s16
	s_cselect_b32 s15, s15, s19
	s_cselect_b32 s19, 0, s17
	s_sub_u32 s12, s12, s18
	s_subb_u32 s13, s13, s19
	s_or_b32 s19, s15, 0x200
	s_lshl_b64 s[12:13], s[12:13], 1
	s_delay_alu instid0(SALU_CYCLE_1) | instskip(NEXT) | instid1(SALU_CYCLE_1)
	s_or_b32 s12, s12, 1
	v_cmp_lt_u64_e64 s18, s[12:13], s[16:17]
	s_delay_alu instid0(VALU_DEP_1)
	s_and_b32 s18, s18, exec_lo
	s_cselect_b32 s18, 0, s16
	s_cselect_b32 s15, s15, s19
	s_cselect_b32 s19, 0, s17
	s_sub_u32 s12, s12, s18
	s_subb_u32 s13, s13, s19
	s_or_b32 s19, s15, 0x100
	s_lshl_b64 s[12:13], s[12:13], 1
	s_delay_alu instid0(SALU_CYCLE_1) | instskip(NEXT) | instid1(SALU_CYCLE_1)
	s_or_b32 s12, s12, 1
	v_cmp_lt_u64_e64 s18, s[12:13], s[16:17]
	s_delay_alu instid0(VALU_DEP_1)
	s_and_b32 s18, s18, exec_lo
	s_cselect_b32 s18, 0, s16
	s_cselect_b32 s15, s15, s19
	s_cselect_b32 s19, 0, s17
	s_sub_u32 s12, s12, s18
	s_subb_u32 s13, s13, s19
	s_or_b32 s19, s15, 0x80
	s_lshl_b64 s[12:13], s[12:13], 1
	s_delay_alu instid0(SALU_CYCLE_1) | instskip(NEXT) | instid1(SALU_CYCLE_1)
	s_or_b32 s12, s12, 1
	v_cmp_lt_u64_e64 s18, s[12:13], s[16:17]
	s_delay_alu instid0(VALU_DEP_1)
	s_and_b32 s18, s18, exec_lo
	s_cselect_b32 s18, 0, s16
	s_cselect_b32 s15, s15, s19
	s_cselect_b32 s19, 0, s17
	s_sub_u32 s12, s12, s18
	s_subb_u32 s13, s13, s19
	s_or_b32 s19, s15, 64
	s_lshl_b64 s[12:13], s[12:13], 1
	s_delay_alu instid0(SALU_CYCLE_1) | instskip(NEXT) | instid1(SALU_CYCLE_1)
	s_or_b32 s12, s12, 1
	v_cmp_lt_u64_e64 s18, s[12:13], s[16:17]
	s_delay_alu instid0(VALU_DEP_1)
	s_and_b32 s18, s18, exec_lo
	s_cselect_b32 s18, 0, s16
	s_cselect_b32 s15, s15, s19
	s_cselect_b32 s19, 0, s17
	s_sub_u32 s12, s12, s18
	s_subb_u32 s13, s13, s19
	s_or_b32 s19, s15, 32
	s_lshl_b64 s[12:13], s[12:13], 1
	s_delay_alu instid0(SALU_CYCLE_1) | instskip(NEXT) | instid1(SALU_CYCLE_1)
	s_or_b32 s12, s12, 1
	v_cmp_lt_u64_e64 s18, s[12:13], s[16:17]
	s_delay_alu instid0(VALU_DEP_1)
	s_and_b32 s18, s18, exec_lo
	s_cselect_b32 s18, 0, s16
	s_cselect_b32 s15, s15, s19
	s_cselect_b32 s19, 0, s17
	s_sub_u32 s12, s12, s18
	s_subb_u32 s13, s13, s19
	s_or_b32 s19, s15, 16
	s_lshl_b64 s[12:13], s[12:13], 1
	s_delay_alu instid0(SALU_CYCLE_1) | instskip(NEXT) | instid1(SALU_CYCLE_1)
	s_or_b32 s12, s12, 1
	v_cmp_lt_u64_e64 s18, s[12:13], s[16:17]
	s_delay_alu instid0(VALU_DEP_1)
	s_and_b32 s18, s18, exec_lo
	s_cselect_b32 s18, 0, s16
	s_cselect_b32 s15, s15, s19
	s_cselect_b32 s19, 0, s17
	s_sub_u32 s12, s12, s18
	s_subb_u32 s13, s13, s19
	s_or_b32 s19, s15, 8
	s_lshl_b64 s[12:13], s[12:13], 1
	s_delay_alu instid0(SALU_CYCLE_1) | instskip(NEXT) | instid1(SALU_CYCLE_1)
	s_or_b32 s12, s12, 1
	v_cmp_lt_u64_e64 s18, s[12:13], s[16:17]
	s_delay_alu instid0(VALU_DEP_1)
	s_and_b32 s18, s18, exec_lo
	s_cselect_b32 s18, 0, s16
	s_cselect_b32 s15, s15, s19
	s_cselect_b32 s19, 0, s17
	s_sub_u32 s12, s12, s18
	s_subb_u32 s13, s13, s19
	s_or_b32 s19, s15, 4
	s_lshl_b64 s[12:13], s[12:13], 1
	s_delay_alu instid0(SALU_CYCLE_1) | instskip(NEXT) | instid1(SALU_CYCLE_1)
	s_or_b32 s12, s12, 1
	v_cmp_lt_u64_e64 s18, s[12:13], s[16:17]
	s_delay_alu instid0(VALU_DEP_1)
	s_and_b32 s18, s18, exec_lo
	s_cselect_b32 s18, 0, s16
	s_cselect_b32 s15, s15, s19
	s_cselect_b32 s19, 0, s17
	s_sub_u32 s12, s12, s18
	s_subb_u32 s13, s13, s19
	s_or_b32 s19, s15, 2
	s_lshl_b64 s[12:13], s[12:13], 1
	s_delay_alu instid0(SALU_CYCLE_1) | instskip(NEXT) | instid1(SALU_CYCLE_1)
	s_or_b32 s12, s12, 1
	v_cmp_lt_u64_e64 s18, s[12:13], s[16:17]
	s_delay_alu instid0(VALU_DEP_1)
	s_and_b32 s18, s18, exec_lo
	s_cselect_b32 s18, 0, s16
	s_cselect_b32 s15, s15, s19
	;; [unrolled: 1-line block ×3, first 2 shown]
	s_sub_u32 s12, s12, s18
	s_subb_u32 s13, s13, s19
	s_delay_alu instid0(SALU_CYCLE_1) | instskip(SKIP_2) | instid1(SALU_CYCLE_1)
	s_lshl_b64 s[18:19], s[12:13], 1
	s_or_b32 s13, s15, 1
	s_or_b32 s18, s18, 1
	v_cmp_lt_u64_e64 s12, s[18:19], s[16:17]
	s_delay_alu instid0(VALU_DEP_1)
	s_and_b32 s12, s12, exec_lo
	s_cselect_b32 s12, s15, s13
	s_cselect_b32 s13, 0, s16
	;; [unrolled: 1-line block ×3, first 2 shown]
	s_sub_u32 s18, s18, s13
	s_subb_u32 s19, s19, s15
	s_or_b32 s15, s14, 0x80000000
	s_lshl_b64 s[18:19], s[18:19], 1
	v_mov_b32_e32 v9, s12
	s_or_b32 s18, s18, 1
	s_delay_alu instid0(SALU_CYCLE_1) | instskip(NEXT) | instid1(VALU_DEP_1)
	v_cmp_lt_u64_e64 s13, s[18:19], s[16:17]
	s_and_b32 s13, s13, exec_lo
	s_cselect_b32 s13, s14, s15
	s_cselect_b32 s14, 0, s16
	;; [unrolled: 1-line block ×3, first 2 shown]
	s_sub_u32 s14, s18, s14
	s_subb_u32 s15, s19, s15
	s_or_b32 s19, s13, 2.0
	s_lshl_b64 s[14:15], s[14:15], 1
	s_delay_alu instid0(SALU_CYCLE_1) | instskip(NEXT) | instid1(SALU_CYCLE_1)
	s_or_b32 s14, s14, 1
	v_cmp_lt_u64_e64 s18, s[14:15], s[16:17]
	s_delay_alu instid0(VALU_DEP_1)
	s_and_b32 s18, s18, exec_lo
	s_cselect_b32 s18, 0, s16
	s_cselect_b32 s13, s13, s19
	s_cselect_b32 s19, 0, s17
	s_sub_u32 s14, s14, s18
	s_subb_u32 s15, s15, s19
	s_or_b32 s19, s13, 0x20000000
	s_lshl_b64 s[14:15], s[14:15], 1
	s_delay_alu instid0(SALU_CYCLE_1) | instskip(NEXT) | instid1(SALU_CYCLE_1)
	s_or_b32 s14, s14, 1
	v_cmp_lt_u64_e64 s18, s[14:15], s[16:17]
	s_delay_alu instid0(VALU_DEP_1)
	s_and_b32 s18, s18, exec_lo
	s_cselect_b32 s18, 0, s16
	s_cselect_b32 s13, s13, s19
	s_cselect_b32 s19, 0, s17
	s_sub_u32 s14, s14, s18
	s_subb_u32 s15, s15, s19
	s_or_b32 s19, s13, 0x10000000
	s_lshl_b64 s[14:15], s[14:15], 1
	s_delay_alu instid0(SALU_CYCLE_1) | instskip(NEXT) | instid1(SALU_CYCLE_1)
	s_or_b32 s14, s14, 1
	v_cmp_lt_u64_e64 s18, s[14:15], s[16:17]
	s_delay_alu instid0(VALU_DEP_1)
	s_and_b32 s18, s18, exec_lo
	s_cselect_b32 s18, 0, s16
	s_cselect_b32 s13, s13, s19
	s_cselect_b32 s19, 0, s17
	s_sub_u32 s14, s14, s18
	s_subb_u32 s15, s15, s19
	s_or_b32 s19, s13, 0x8000000
	s_lshl_b64 s[14:15], s[14:15], 1
	s_delay_alu instid0(SALU_CYCLE_1) | instskip(NEXT) | instid1(SALU_CYCLE_1)
	s_or_b32 s14, s14, 1
	v_cmp_lt_u64_e64 s18, s[14:15], s[16:17]
	s_delay_alu instid0(VALU_DEP_1)
	s_and_b32 s18, s18, exec_lo
	s_cselect_b32 s18, 0, s16
	s_cselect_b32 s13, s13, s19
	s_cselect_b32 s19, 0, s17
	s_sub_u32 s14, s14, s18
	s_subb_u32 s15, s15, s19
	s_or_b32 s19, s13, 0x4000000
	s_lshl_b64 s[14:15], s[14:15], 1
	s_delay_alu instid0(SALU_CYCLE_1) | instskip(NEXT) | instid1(SALU_CYCLE_1)
	s_or_b32 s14, s14, 1
	v_cmp_lt_u64_e64 s18, s[14:15], s[16:17]
	s_delay_alu instid0(VALU_DEP_1)
	s_and_b32 s18, s18, exec_lo
	s_cselect_b32 s18, 0, s16
	s_cselect_b32 s13, s13, s19
	s_cselect_b32 s19, 0, s17
	s_sub_u32 s14, s14, s18
	s_subb_u32 s15, s15, s19
	s_or_b32 s19, s13, 0x2000000
	s_lshl_b64 s[14:15], s[14:15], 1
	s_delay_alu instid0(SALU_CYCLE_1) | instskip(NEXT) | instid1(SALU_CYCLE_1)
	s_or_b32 s14, s14, 1
	v_cmp_lt_u64_e64 s18, s[14:15], s[16:17]
	s_delay_alu instid0(VALU_DEP_1)
	s_and_b32 s18, s18, exec_lo
	s_cselect_b32 s18, 0, s16
	s_cselect_b32 s13, s13, s19
	s_cselect_b32 s19, 0, s17
	s_sub_u32 s14, s14, s18
	s_subb_u32 s15, s15, s19
	s_or_b32 s19, s13, 0x1000000
	s_lshl_b64 s[14:15], s[14:15], 1
	s_delay_alu instid0(SALU_CYCLE_1) | instskip(NEXT) | instid1(SALU_CYCLE_1)
	s_or_b32 s14, s14, 1
	v_cmp_lt_u64_e64 s18, s[14:15], s[16:17]
	s_delay_alu instid0(VALU_DEP_1)
	s_and_b32 s18, s18, exec_lo
	s_cselect_b32 s18, 0, s16
	s_cselect_b32 s13, s13, s19
	s_cselect_b32 s19, 0, s17
	s_sub_u32 s14, s14, s18
	s_subb_u32 s15, s15, s19
	s_or_b32 s19, s13, 0x800000
	s_lshl_b64 s[14:15], s[14:15], 1
	s_delay_alu instid0(SALU_CYCLE_1) | instskip(NEXT) | instid1(SALU_CYCLE_1)
	s_or_b32 s14, s14, 1
	v_cmp_lt_u64_e64 s18, s[14:15], s[16:17]
	s_delay_alu instid0(VALU_DEP_1)
	s_and_b32 s18, s18, exec_lo
	s_cselect_b32 s18, 0, s16
	s_cselect_b32 s13, s13, s19
	s_cselect_b32 s19, 0, s17
	s_sub_u32 s14, s14, s18
	s_subb_u32 s15, s15, s19
	s_or_b32 s19, s13, 0x400000
	s_lshl_b64 s[14:15], s[14:15], 1
	s_delay_alu instid0(SALU_CYCLE_1) | instskip(NEXT) | instid1(SALU_CYCLE_1)
	s_or_b32 s14, s14, 1
	v_cmp_lt_u64_e64 s18, s[14:15], s[16:17]
	s_delay_alu instid0(VALU_DEP_1)
	s_and_b32 s18, s18, exec_lo
	s_cselect_b32 s18, 0, s16
	s_cselect_b32 s13, s13, s19
	s_cselect_b32 s19, 0, s17
	s_sub_u32 s14, s14, s18
	s_subb_u32 s15, s15, s19
	s_or_b32 s19, s13, 0x200000
	s_lshl_b64 s[14:15], s[14:15], 1
	s_delay_alu instid0(SALU_CYCLE_1) | instskip(NEXT) | instid1(SALU_CYCLE_1)
	s_or_b32 s14, s14, 1
	v_cmp_lt_u64_e64 s18, s[14:15], s[16:17]
	s_delay_alu instid0(VALU_DEP_1)
	s_and_b32 s18, s18, exec_lo
	s_cselect_b32 s18, 0, s16
	s_cselect_b32 s13, s13, s19
	s_cselect_b32 s19, 0, s17
	s_sub_u32 s14, s14, s18
	s_subb_u32 s15, s15, s19
	s_or_b32 s19, s13, 0x100000
	s_lshl_b64 s[14:15], s[14:15], 1
	s_delay_alu instid0(SALU_CYCLE_1) | instskip(NEXT) | instid1(SALU_CYCLE_1)
	s_or_b32 s14, s14, 1
	v_cmp_lt_u64_e64 s18, s[14:15], s[16:17]
	s_delay_alu instid0(VALU_DEP_1)
	s_and_b32 s18, s18, exec_lo
	s_cselect_b32 s18, 0, s16
	s_cselect_b32 s13, s13, s19
	s_cselect_b32 s19, 0, s17
	s_sub_u32 s14, s14, s18
	s_subb_u32 s15, s15, s19
	s_or_b32 s19, s13, 0x80000
	s_lshl_b64 s[14:15], s[14:15], 1
	s_delay_alu instid0(SALU_CYCLE_1) | instskip(NEXT) | instid1(SALU_CYCLE_1)
	s_or_b32 s14, s14, 1
	v_cmp_lt_u64_e64 s18, s[14:15], s[16:17]
	s_delay_alu instid0(VALU_DEP_1)
	s_and_b32 s18, s18, exec_lo
	s_cselect_b32 s18, 0, s16
	s_cselect_b32 s13, s13, s19
	s_cselect_b32 s19, 0, s17
	s_sub_u32 s14, s14, s18
	s_subb_u32 s15, s15, s19
	s_or_b32 s19, s13, 0x40000
	s_lshl_b64 s[14:15], s[14:15], 1
	s_delay_alu instid0(SALU_CYCLE_1) | instskip(NEXT) | instid1(SALU_CYCLE_1)
	s_or_b32 s14, s14, 1
	v_cmp_lt_u64_e64 s18, s[14:15], s[16:17]
	s_delay_alu instid0(VALU_DEP_1)
	s_and_b32 s18, s18, exec_lo
	s_cselect_b32 s18, 0, s16
	s_cselect_b32 s13, s13, s19
	s_cselect_b32 s19, 0, s17
	s_sub_u32 s14, s14, s18
	s_subb_u32 s15, s15, s19
	s_or_b32 s19, s13, 0x20000
	s_lshl_b64 s[14:15], s[14:15], 1
	s_delay_alu instid0(SALU_CYCLE_1) | instskip(NEXT) | instid1(SALU_CYCLE_1)
	s_or_b32 s14, s14, 1
	v_cmp_lt_u64_e64 s18, s[14:15], s[16:17]
	s_delay_alu instid0(VALU_DEP_1)
	s_and_b32 s18, s18, exec_lo
	s_cselect_b32 s18, 0, s16
	s_cselect_b32 s13, s13, s19
	s_cselect_b32 s19, 0, s17
	s_sub_u32 s14, s14, s18
	s_subb_u32 s15, s15, s19
	s_or_b32 s19, s13, 0x10000
	s_lshl_b64 s[14:15], s[14:15], 1
	s_delay_alu instid0(SALU_CYCLE_1) | instskip(NEXT) | instid1(SALU_CYCLE_1)
	s_or_b32 s14, s14, 1
	v_cmp_lt_u64_e64 s18, s[14:15], s[16:17]
	s_delay_alu instid0(VALU_DEP_1)
	s_and_b32 s18, s18, exec_lo
	s_cselect_b32 s18, 0, s16
	s_cselect_b32 s13, s13, s19
	s_cselect_b32 s19, 0, s17
	s_sub_u32 s14, s14, s18
	s_subb_u32 s15, s15, s19
	s_or_b32 s19, s13, 0x8000
	s_lshl_b64 s[14:15], s[14:15], 1
	s_delay_alu instid0(SALU_CYCLE_1) | instskip(NEXT) | instid1(SALU_CYCLE_1)
	s_or_b32 s14, s14, 1
	v_cmp_lt_u64_e64 s18, s[14:15], s[16:17]
	s_delay_alu instid0(VALU_DEP_1)
	s_and_b32 s18, s18, exec_lo
	s_cselect_b32 s18, 0, s16
	s_cselect_b32 s13, s13, s19
	s_cselect_b32 s19, 0, s17
	s_sub_u32 s14, s14, s18
	s_subb_u32 s15, s15, s19
	s_or_b32 s19, s13, 0x4000
	s_lshl_b64 s[14:15], s[14:15], 1
	s_delay_alu instid0(SALU_CYCLE_1) | instskip(NEXT) | instid1(SALU_CYCLE_1)
	s_or_b32 s14, s14, 1
	v_cmp_lt_u64_e64 s18, s[14:15], s[16:17]
	s_delay_alu instid0(VALU_DEP_1)
	s_and_b32 s18, s18, exec_lo
	s_cselect_b32 s18, 0, s16
	s_cselect_b32 s13, s13, s19
	s_cselect_b32 s19, 0, s17
	s_sub_u32 s14, s14, s18
	s_subb_u32 s15, s15, s19
	s_or_b32 s19, s13, 0x2000
	s_lshl_b64 s[14:15], s[14:15], 1
	s_delay_alu instid0(SALU_CYCLE_1) | instskip(NEXT) | instid1(SALU_CYCLE_1)
	s_or_b32 s14, s14, 1
	v_cmp_lt_u64_e64 s18, s[14:15], s[16:17]
	s_delay_alu instid0(VALU_DEP_1)
	s_and_b32 s18, s18, exec_lo
	s_cselect_b32 s18, 0, s16
	s_cselect_b32 s13, s13, s19
	s_cselect_b32 s19, 0, s17
	s_sub_u32 s14, s14, s18
	s_subb_u32 s15, s15, s19
	s_or_b32 s19, s13, 0x1000
	s_lshl_b64 s[14:15], s[14:15], 1
	s_delay_alu instid0(SALU_CYCLE_1) | instskip(NEXT) | instid1(SALU_CYCLE_1)
	s_or_b32 s14, s14, 1
	v_cmp_lt_u64_e64 s18, s[14:15], s[16:17]
	s_delay_alu instid0(VALU_DEP_1)
	s_and_b32 s18, s18, exec_lo
	s_cselect_b32 s18, 0, s16
	s_cselect_b32 s13, s13, s19
	s_cselect_b32 s19, 0, s17
	s_sub_u32 s14, s14, s18
	s_subb_u32 s15, s15, s19
	s_or_b32 s19, s13, 0x800
	s_lshl_b64 s[14:15], s[14:15], 1
	s_delay_alu instid0(SALU_CYCLE_1) | instskip(NEXT) | instid1(SALU_CYCLE_1)
	s_or_b32 s14, s14, 1
	v_cmp_lt_u64_e64 s18, s[14:15], s[16:17]
	s_delay_alu instid0(VALU_DEP_1)
	s_and_b32 s18, s18, exec_lo
	s_cselect_b32 s18, 0, s16
	s_cselect_b32 s13, s13, s19
	s_cselect_b32 s19, 0, s17
	s_sub_u32 s14, s14, s18
	s_subb_u32 s15, s15, s19
	s_or_b32 s19, s13, 0x400
	s_lshl_b64 s[14:15], s[14:15], 1
	s_delay_alu instid0(SALU_CYCLE_1) | instskip(NEXT) | instid1(SALU_CYCLE_1)
	s_or_b32 s14, s14, 1
	v_cmp_lt_u64_e64 s18, s[14:15], s[16:17]
	s_delay_alu instid0(VALU_DEP_1)
	s_and_b32 s18, s18, exec_lo
	s_cselect_b32 s18, 0, s16
	s_cselect_b32 s13, s13, s19
	s_cselect_b32 s19, 0, s17
	s_sub_u32 s14, s14, s18
	s_subb_u32 s15, s15, s19
	s_or_b32 s19, s13, 0x200
	s_lshl_b64 s[14:15], s[14:15], 1
	s_delay_alu instid0(SALU_CYCLE_1) | instskip(NEXT) | instid1(SALU_CYCLE_1)
	s_or_b32 s14, s14, 1
	v_cmp_lt_u64_e64 s18, s[14:15], s[16:17]
	s_delay_alu instid0(VALU_DEP_1)
	s_and_b32 s18, s18, exec_lo
	s_cselect_b32 s18, 0, s16
	s_cselect_b32 s13, s13, s19
	s_cselect_b32 s19, 0, s17
	s_sub_u32 s14, s14, s18
	s_subb_u32 s15, s15, s19
	s_or_b32 s19, s13, 0x100
	s_lshl_b64 s[14:15], s[14:15], 1
	s_delay_alu instid0(SALU_CYCLE_1) | instskip(NEXT) | instid1(SALU_CYCLE_1)
	s_or_b32 s14, s14, 1
	v_cmp_lt_u64_e64 s18, s[14:15], s[16:17]
	s_delay_alu instid0(VALU_DEP_1)
	s_and_b32 s18, s18, exec_lo
	s_cselect_b32 s18, 0, s16
	s_cselect_b32 s13, s13, s19
	s_cselect_b32 s19, 0, s17
	s_sub_u32 s14, s14, s18
	s_subb_u32 s15, s15, s19
	s_or_b32 s19, s13, 0x80
	s_lshl_b64 s[14:15], s[14:15], 1
	s_delay_alu instid0(SALU_CYCLE_1) | instskip(NEXT) | instid1(SALU_CYCLE_1)
	s_or_b32 s14, s14, 1
	v_cmp_lt_u64_e64 s18, s[14:15], s[16:17]
	s_delay_alu instid0(VALU_DEP_1)
	s_and_b32 s18, s18, exec_lo
	s_cselect_b32 s18, 0, s16
	s_cselect_b32 s13, s13, s19
	s_cselect_b32 s19, 0, s17
	s_sub_u32 s14, s14, s18
	s_subb_u32 s15, s15, s19
	s_or_b32 s19, s13, 64
	s_lshl_b64 s[14:15], s[14:15], 1
	s_delay_alu instid0(SALU_CYCLE_1) | instskip(NEXT) | instid1(SALU_CYCLE_1)
	s_or_b32 s14, s14, 1
	v_cmp_lt_u64_e64 s18, s[14:15], s[16:17]
	s_delay_alu instid0(VALU_DEP_1)
	s_and_b32 s18, s18, exec_lo
	s_cselect_b32 s18, 0, s16
	s_cselect_b32 s13, s13, s19
	s_cselect_b32 s19, 0, s17
	s_sub_u32 s14, s14, s18
	s_subb_u32 s15, s15, s19
	s_or_b32 s19, s13, 32
	s_lshl_b64 s[14:15], s[14:15], 1
	s_delay_alu instid0(SALU_CYCLE_1) | instskip(NEXT) | instid1(SALU_CYCLE_1)
	s_or_b32 s14, s14, 1
	v_cmp_lt_u64_e64 s18, s[14:15], s[16:17]
	s_delay_alu instid0(VALU_DEP_1)
	s_and_b32 s18, s18, exec_lo
	s_cselect_b32 s18, 0, s16
	s_cselect_b32 s13, s13, s19
	s_cselect_b32 s19, 0, s17
	s_sub_u32 s14, s14, s18
	s_subb_u32 s15, s15, s19
	s_or_b32 s19, s13, 16
	s_lshl_b64 s[14:15], s[14:15], 1
	s_delay_alu instid0(SALU_CYCLE_1) | instskip(NEXT) | instid1(SALU_CYCLE_1)
	s_or_b32 s14, s14, 1
	v_cmp_lt_u64_e64 s18, s[14:15], s[16:17]
	s_delay_alu instid0(VALU_DEP_1)
	s_and_b32 s18, s18, exec_lo
	s_cselect_b32 s18, 0, s16
	s_cselect_b32 s13, s13, s19
	s_cselect_b32 s19, 0, s17
	s_sub_u32 s14, s14, s18
	s_subb_u32 s15, s15, s19
	s_or_b32 s19, s13, 8
	s_lshl_b64 s[14:15], s[14:15], 1
	s_delay_alu instid0(SALU_CYCLE_1) | instskip(NEXT) | instid1(SALU_CYCLE_1)
	s_or_b32 s14, s14, 1
	v_cmp_lt_u64_e64 s18, s[14:15], s[16:17]
	s_delay_alu instid0(VALU_DEP_1)
	s_and_b32 s18, s18, exec_lo
	s_cselect_b32 s18, 0, s16
	s_cselect_b32 s13, s13, s19
	s_cselect_b32 s19, 0, s17
	s_sub_u32 s14, s14, s18
	s_subb_u32 s15, s15, s19
	s_or_b32 s19, s13, 4
	s_lshl_b64 s[14:15], s[14:15], 1
	s_delay_alu instid0(SALU_CYCLE_1) | instskip(NEXT) | instid1(SALU_CYCLE_1)
	s_or_b32 s14, s14, 1
	v_cmp_lt_u64_e64 s18, s[14:15], s[16:17]
	s_delay_alu instid0(VALU_DEP_1)
	s_and_b32 s18, s18, exec_lo
	s_cselect_b32 s18, 0, s16
	s_cselect_b32 s13, s13, s19
	s_cselect_b32 s19, 0, s17
	s_sub_u32 s14, s14, s18
	s_subb_u32 s15, s15, s19
	s_or_b32 s19, s13, 2
	s_lshl_b64 s[14:15], s[14:15], 1
	s_delay_alu instid0(SALU_CYCLE_1) | instskip(NEXT) | instid1(SALU_CYCLE_1)
	s_or_b32 s14, s14, 1
	v_cmp_lt_u64_e64 s18, s[14:15], s[16:17]
	s_delay_alu instid0(VALU_DEP_1)
	s_and_b32 s18, s18, exec_lo
	s_cselect_b32 s18, 0, s16
	s_cselect_b32 s13, s13, s19
	;; [unrolled: 1-line block ×3, first 2 shown]
	s_sub_u32 s14, s14, s18
	s_subb_u32 s15, s15, s19
	s_delay_alu instid0(SALU_CYCLE_1) | instskip(NEXT) | instid1(SALU_CYCLE_1)
	s_lshl_b64 s[14:15], s[14:15], 1
	s_or_b32 s14, s14, 1
	s_delay_alu instid0(SALU_CYCLE_1) | instskip(NEXT) | instid1(VALU_DEP_1)
	v_cmp_ge_u64_e64 s14, s[14:15], s[16:17]
	v_cndmask_b32_e64 v8, 0, 1, s14
	s_delay_alu instid0(VALU_DEP_1)
	v_or_b32_e32 v8, s13, v8
.LBB4_751:                              ;   in Loop: Header=BB4_568 Depth=2
	v_ashrrev_i32_e32 v10, 31, v53
	s_mov_b32 s12, exec_lo
	s_delay_alu instid0(VALU_DEP_1) | instskip(NEXT) | instid1(VALU_DEP_1)
	v_lshrrev_b32_e32 v10, 23, v10
	v_add_nc_u32_e32 v10, v53, v10
	s_delay_alu instid0(VALU_DEP_1) | instskip(NEXT) | instid1(VALU_DEP_1)
	v_ashrrev_i32_e32 v80, 9, v10
	v_sub_nc_u32_e32 v70, v80, v2
	s_delay_alu instid0(VALU_DEP_1)
	v_cmpx_lt_i32_e32 0, v70
	s_cbranch_execz .LBB4_756
; %bb.752:                              ;   in Loop: Header=BB4_568 Depth=2
	s_cbranch_execnz .LBB4_1827
; %bb.753:                              ;   in Loop: Header=BB4_568 Depth=2
	ds_load_b128 v[64:67], v0
	ds_load_b64 v[81:82], v0
	v_lshlrev_b32_e32 v2, 9, v2
	v_lshlrev_b32_e32 v10, 3, v69
	s_cmp_lt_i32 s30, 0
	s_mov_b32 s20, 0
	s_cselect_b32 s21, -1, 0
	s_delay_alu instid0(VALU_DEP_1) | instskip(NEXT) | instid1(VALU_DEP_1)
	v_add3_u32 v2, v68, v10, v2
	v_ashrrev_i32_e32 v83, 31, v2
	s_waitcnt lgkmcnt(1)
	v_add_co_u32 v10, vcc_lo, v64, v2
	s_delay_alu instid0(VALU_DEP_2)
	v_add_co_ci_u32_e32 v11, vcc_lo, v65, v83, vcc_lo
	v_add_co_u32 v64, vcc_lo, v66, v2
	v_add_co_ci_u32_e32 v65, vcc_lo, v67, v83, vcc_lo
	s_waitcnt lgkmcnt(0)
	v_add_co_u32 v66, vcc_lo, v81, v2
	v_add_co_ci_u32_e32 v67, vcc_lo, v82, v83, vcc_lo
.LBB4_754:                              ;   Parent Loop BB4_55 Depth=1
                                        ;     Parent Loop BB4_568 Depth=2
                                        ; =>    This Inner Loop Header: Depth=3
	flat_load_b64 v[81:82], v[64:65] slc dlc
	s_clause 0x1
	flat_load_b64 v[133:134], v[10:11] slc dlc
	flat_load_b64 v[144:145], v[10:11] offset:256 slc dlc
	flat_load_b64 v[146:147], v[64:65] offset:256 slc dlc
	v_add_co_u32 v10, vcc_lo, v10, v114
	v_sub_nc_u32_e32 v70, v70, v86
	v_add_co_ci_u32_e32 v11, vcc_lo, v11, v115, vcc_lo
	v_add_co_u32 v64, vcc_lo, v64, v114
	v_add_co_ci_u32_e32 v65, vcc_lo, v65, v115, vcc_lo
	s_delay_alu instid0(VALU_DEP_4) | instskip(SKIP_2) | instid1(VALU_DEP_1)
	v_cmp_gt_i32_e32 vcc_lo, 1, v70
	s_waitcnt vmcnt(2) lgkmcnt(2)
	v_add_co_u32 v81, s13, v81, v133
	v_add_co_ci_u32_e64 v82, s13, v82, v134, s13
	s_waitcnt vmcnt(0) lgkmcnt(0)
	v_add_co_u32 v133, s13, v146, v144
	s_delay_alu instid0(VALU_DEP_1) | instskip(NEXT) | instid1(VALU_DEP_3)
	v_add_co_ci_u32_e64 v134, s13, v147, v145, s13
	v_cmp_gt_i64_e64 s13, 0, v[81:82]
	v_sub_co_u32 v2, s14, 0, v81
	s_delay_alu instid0(VALU_DEP_1) | instskip(NEXT) | instid1(VALU_DEP_4)
	v_sub_co_ci_u32_e64 v144, s14, 0, v82, s14
	v_cmp_gt_i64_e64 s14, 0, v[133:134]
	s_delay_alu instid0(VALU_DEP_4) | instskip(SKIP_3) | instid1(VALU_DEP_4)
	s_and_b32 s13, s21, s13
	v_sub_co_u32 v145, s15, 0, v133
	v_cndmask_b32_e64 v150, v81, v2, s13
	v_cndmask_b32_e64 v148, v82, v144, s13
	s_and_b32 s14, s21, s14
	v_sub_co_ci_u32_e64 v146, s15, 0, v134, s15
	s_delay_alu instid0(VALU_DEP_3) | instskip(SKIP_2) | instid1(VALU_DEP_3)
	v_mul_hi_u32 v2, v150, v8
	v_cndmask_b32_e64 v151, v133, v145, s14
	s_or_b32 s20, vcc_lo, s20
	v_cndmask_b32_e64 v149, v134, v146, s14
	s_delay_alu instid0(VALU_DEP_3) | instskip(NEXT) | instid1(VALU_DEP_1)
	v_mad_u64_u32 v[81:82], null, v148, v8, v[2:3]
	v_dual_mov_b32 v83, v3 :: v_dual_mov_b32 v2, v81
	s_delay_alu instid0(VALU_DEP_1) | instskip(NEXT) | instid1(VALU_DEP_2)
	v_mad_u64_u32 v[144:145], null, v148, v9, v[82:83]
	v_mad_u64_u32 v[133:134], null, v150, v9, v[2:3]
	v_mul_hi_u32 v2, v151, v8
	s_delay_alu instid0(VALU_DEP_2) | instskip(NEXT) | instid1(VALU_DEP_2)
	v_mov_b32_e32 v83, v134
	v_mad_u64_u32 v[81:82], null, v149, v8, v[2:3]
	v_mov_b32_e32 v135, v3
	s_delay_alu instid0(VALU_DEP_3) | instskip(NEXT) | instid1(VALU_DEP_1)
	v_add_co_u32 v83, s15, v144, v83
	v_add_co_ci_u32_e64 v133, s15, 0, v145, s15
	s_delay_alu instid0(VALU_DEP_4) | instskip(SKIP_1) | instid1(VALU_DEP_3)
	v_mov_b32_e32 v2, v81
	v_mov_b32_e32 v134, v82
	v_mul_lo_u32 v160, v133, s16
	v_mul_lo_u32 v161, v83, s17
	v_mad_u64_u32 v[81:82], null, v83, s16, 0
	v_mad_u64_u32 v[144:145], null, v151, v9, v[2:3]
	;; [unrolled: 1-line block ×3, first 2 shown]
	s_delay_alu instid0(VALU_DEP_3) | instskip(NEXT) | instid1(VALU_DEP_4)
	v_add3_u32 v2, v82, v161, v160
	v_sub_co_u32 v81, s15, v150, v81
	s_delay_alu instid0(VALU_DEP_4) | instskip(NEXT) | instid1(VALU_DEP_3)
	v_mov_b32_e32 v134, v145
	v_sub_co_ci_u32_e64 v82, s15, v148, v2, s15
	s_delay_alu instid0(VALU_DEP_2) | instskip(NEXT) | instid1(VALU_DEP_1)
	v_add_co_u32 v2, s15, v146, v134
	v_add_co_ci_u32_e64 v135, s15, 0, v147, s15
	s_delay_alu instid0(VALU_DEP_3) | instskip(NEXT) | instid1(VALU_DEP_3)
	v_cmp_le_u64_e64 s15, s[16:17], v[81:82]
	v_mul_lo_u32 v145, v2, s17
	v_mad_u64_u32 v[81:82], null, v2, s16, 0
	s_delay_alu instid0(VALU_DEP_4) | instskip(NEXT) | instid1(VALU_DEP_4)
	v_mul_lo_u32 v144, v135, s16
	v_cndmask_b32_e64 v134, 0, 1, s15
	s_delay_alu instid0(VALU_DEP_1) | instskip(NEXT) | instid1(VALU_DEP_1)
	v_add_co_u32 v83, s15, v83, v134
	v_add_co_ci_u32_e64 v133, s15, 0, v133, s15
	s_delay_alu instid0(VALU_DEP_4) | instskip(NEXT) | instid1(VALU_DEP_3)
	v_add3_u32 v82, v82, v145, v144
	v_sub_co_u32 v146, s15, 0, v83
	s_delay_alu instid0(VALU_DEP_1) | instskip(SKIP_1) | instid1(VALU_DEP_2)
	v_sub_co_ci_u32_e64 v134, s15, 0, v133, s15
	v_sub_co_u32 v81, s15, v151, v81
	v_cndmask_b32_e64 v134, v133, v134, s13
	s_delay_alu instid0(VALU_DEP_4) | instskip(SKIP_1) | instid1(VALU_DEP_1)
	v_cndmask_b32_e64 v133, v83, v146, s13
	v_sub_co_ci_u32_e64 v82, s13, v149, v82, s15
	v_cmp_le_u64_e64 s13, s[16:17], v[81:82]
	s_delay_alu instid0(VALU_DEP_1) | instskip(NEXT) | instid1(VALU_DEP_1)
	v_cndmask_b32_e64 v81, 0, 1, s13
	v_add_co_u32 v2, s13, v2, v81
	s_delay_alu instid0(VALU_DEP_1) | instskip(NEXT) | instid1(VALU_DEP_2)
	v_add_co_ci_u32_e64 v81, s13, 0, v135, s13
	v_sub_co_u32 v83, s13, 0, v2
	s_delay_alu instid0(VALU_DEP_1) | instskip(NEXT) | instid1(VALU_DEP_1)
	v_sub_co_ci_u32_e64 v82, s13, 0, v81, s13
	v_cndmask_b32_e64 v82, v81, v82, s14
	s_delay_alu instid0(VALU_DEP_3) | instskip(SKIP_4) | instid1(VALU_DEP_1)
	v_cndmask_b32_e64 v81, v2, v83, s14
	s_clause 0x1
	flat_store_b64 v[66:67], v[133:134] glc slc dlc
	flat_store_b64 v[66:67], v[81:82] offset:256 glc slc dlc
	v_add_co_u32 v66, s13, v66, v114
	v_add_co_ci_u32_e64 v67, s13, v67, v115, s13
	s_and_not1_b32 exec_lo, exec_lo, s20
	s_cbranch_execnz .LBB4_754
; %bb.755:                              ;   in Loop: Header=BB4_568 Depth=2
	s_or_b32 exec_lo, exec_lo, s20
.LBB4_756:                              ;   in Loop: Header=BB4_568 Depth=2
	s_delay_alu instid0(SALU_CYCLE_1) | instskip(SKIP_2) | instid1(VALU_DEP_1)
	s_or_b32 exec_lo, exec_lo, s12
	v_lshlrev_b32_e32 v2, 9, v80
	s_mov_b32 s20, exec_lo
	v_cmpx_ne_u32_e64 v53, v2
	s_cbranch_execz .LBB4_766
; %bb.757:                              ;   in Loop: Header=BB4_568 Depth=2
	v_mov_b32_e32 v8, -1
	v_mov_b32_e32 v9, -1
	s_cmp_lt_i32 s38, 1
	s_cbranch_scc1 .LBB4_762
; %bb.758:                              ;   in Loop: Header=BB4_568 Depth=2
	s_cmp_lg_u32 s38, 1
	s_cbranch_scc1 .LBB4_760
; %bb.759:                              ;   in Loop: Header=BB4_568 Depth=2
	v_readlane_b32 s12, v42, 1
	v_readlane_b32 s13, v42, 2
	s_mov_b32 s14, s39
	s_mov_b64 s[22:23], 1
	s_delay_alu instid0(VALU_DEP_1)
	s_mov_b32 s15, s13
	v_writelane_b32 v42, s12, 1
	v_writelane_b32 v42, s13, 2
	s_branch .LBB4_761
.LBB4_760:                              ;   in Loop: Header=BB4_568 Depth=2
	s_mov_b64 s[22:23], 3
	s_mov_b64 s[14:15], 0
.LBB4_761:                              ;   in Loop: Header=BB4_568 Depth=2
	v_cmp_lt_u64_e64 s12, s[22:23], s[16:17]
	s_or_b32 s13, s15, 2.0
	s_delay_alu instid0(VALU_DEP_1)
	s_and_b32 s12, s12, exec_lo
	s_cselect_b32 s12, 0, s16
	s_cselect_b32 s15, s15, s13
	s_cselect_b32 s13, 0, s17
	s_sub_u32 s12, s22, s12
	s_subb_u32 s13, s23, s13
	s_or_b32 s19, s15, 0x20000000
	s_lshl_b64 s[12:13], s[12:13], 1
	s_delay_alu instid0(SALU_CYCLE_1) | instskip(NEXT) | instid1(SALU_CYCLE_1)
	s_or_b32 s12, s12, 1
	v_cmp_lt_u64_e64 s18, s[12:13], s[16:17]
	s_delay_alu instid0(VALU_DEP_1)
	s_and_b32 s18, s18, exec_lo
	s_cselect_b32 s18, 0, s16
	s_cselect_b32 s15, s15, s19
	s_cselect_b32 s19, 0, s17
	s_sub_u32 s12, s12, s18
	s_subb_u32 s13, s13, s19
	s_or_b32 s19, s15, 0x10000000
	s_lshl_b64 s[12:13], s[12:13], 1
	s_delay_alu instid0(SALU_CYCLE_1) | instskip(NEXT) | instid1(SALU_CYCLE_1)
	s_or_b32 s12, s12, 1
	v_cmp_lt_u64_e64 s18, s[12:13], s[16:17]
	;; [unrolled: 12-line block ×29, first 2 shown]
	s_delay_alu instid0(VALU_DEP_1)
	s_and_b32 s18, s18, exec_lo
	s_cselect_b32 s18, 0, s16
	s_cselect_b32 s15, s15, s19
	;; [unrolled: 1-line block ×3, first 2 shown]
	s_sub_u32 s12, s12, s18
	s_subb_u32 s13, s13, s19
	s_delay_alu instid0(SALU_CYCLE_1) | instskip(SKIP_2) | instid1(SALU_CYCLE_1)
	s_lshl_b64 s[18:19], s[12:13], 1
	s_or_b32 s13, s15, 1
	s_or_b32 s18, s18, 1
	v_cmp_lt_u64_e64 s12, s[18:19], s[16:17]
	s_delay_alu instid0(VALU_DEP_1)
	s_and_b32 s12, s12, exec_lo
	s_cselect_b32 s12, s15, s13
	s_cselect_b32 s13, 0, s16
	;; [unrolled: 1-line block ×3, first 2 shown]
	s_sub_u32 s18, s18, s13
	s_subb_u32 s19, s19, s15
	s_or_b32 s15, s14, 0x80000000
	s_lshl_b64 s[18:19], s[18:19], 1
	v_mov_b32_e32 v9, s12
	s_or_b32 s18, s18, 1
	s_delay_alu instid0(SALU_CYCLE_1) | instskip(NEXT) | instid1(VALU_DEP_1)
	v_cmp_lt_u64_e64 s13, s[18:19], s[16:17]
	s_and_b32 s13, s13, exec_lo
	s_cselect_b32 s13, s14, s15
	s_cselect_b32 s14, 0, s16
	;; [unrolled: 1-line block ×3, first 2 shown]
	s_sub_u32 s14, s18, s14
	s_subb_u32 s15, s19, s15
	s_or_b32 s19, s13, 2.0
	s_lshl_b64 s[14:15], s[14:15], 1
	s_delay_alu instid0(SALU_CYCLE_1) | instskip(NEXT) | instid1(SALU_CYCLE_1)
	s_or_b32 s14, s14, 1
	v_cmp_lt_u64_e64 s18, s[14:15], s[16:17]
	s_delay_alu instid0(VALU_DEP_1)
	s_and_b32 s18, s18, exec_lo
	s_cselect_b32 s18, 0, s16
	s_cselect_b32 s13, s13, s19
	s_cselect_b32 s19, 0, s17
	s_sub_u32 s14, s14, s18
	s_subb_u32 s15, s15, s19
	s_or_b32 s19, s13, 0x20000000
	s_lshl_b64 s[14:15], s[14:15], 1
	s_delay_alu instid0(SALU_CYCLE_1) | instskip(NEXT) | instid1(SALU_CYCLE_1)
	s_or_b32 s14, s14, 1
	v_cmp_lt_u64_e64 s18, s[14:15], s[16:17]
	s_delay_alu instid0(VALU_DEP_1)
	s_and_b32 s18, s18, exec_lo
	s_cselect_b32 s18, 0, s16
	s_cselect_b32 s13, s13, s19
	s_cselect_b32 s19, 0, s17
	s_sub_u32 s14, s14, s18
	s_subb_u32 s15, s15, s19
	s_or_b32 s19, s13, 0x10000000
	;; [unrolled: 12-line block ×29, first 2 shown]
	s_lshl_b64 s[14:15], s[14:15], 1
	s_delay_alu instid0(SALU_CYCLE_1) | instskip(NEXT) | instid1(SALU_CYCLE_1)
	s_or_b32 s14, s14, 1
	v_cmp_lt_u64_e64 s18, s[14:15], s[16:17]
	s_delay_alu instid0(VALU_DEP_1)
	s_and_b32 s18, s18, exec_lo
	s_cselect_b32 s18, 0, s16
	s_cselect_b32 s13, s13, s19
	s_cselect_b32 s19, 0, s17
	s_sub_u32 s14, s14, s18
	s_subb_u32 s15, s15, s19
	s_delay_alu instid0(SALU_CYCLE_1) | instskip(NEXT) | instid1(SALU_CYCLE_1)
	s_lshl_b64 s[14:15], s[14:15], 1
	s_or_b32 s14, s14, 1
	s_delay_alu instid0(SALU_CYCLE_1) | instskip(NEXT) | instid1(VALU_DEP_1)
	v_cmp_ge_u64_e64 s14, s[14:15], s[16:17]
	v_cndmask_b32_e64 v8, 0, 1, s14
	s_delay_alu instid0(VALU_DEP_1)
	v_or_b32_e32 v8, s13, v8
.LBB4_762:                              ;   in Loop: Header=BB4_568 Depth=2
	v_lshlrev_b32_e32 v10, 5, v70
	s_delay_alu instid0(VALU_DEP_1) | instskip(NEXT) | instid1(VALU_DEP_1)
	v_sub_nc_u32_e32 v10, v69, v10
	v_ashrrev_i32_e32 v11, 31, v10
	s_delay_alu instid0(VALU_DEP_1) | instskip(NEXT) | instid1(VALU_DEP_1)
	v_lshrrev_b32_e32 v11, 27, v11
	v_add_nc_u32_e32 v11, v10, v11
	s_delay_alu instid0(VALU_DEP_1) | instskip(SKIP_1) | instid1(VALU_DEP_2)
	v_and_b32_e32 v64, 0x1fffffe0, v11
	v_lshlrev_b32_e32 v11, 3, v11
	v_sub_nc_u32_e32 v10, v10, v64
	s_delay_alu instid0(VALU_DEP_2) | instskip(NEXT) | instid1(VALU_DEP_1)
	v_and_b32_e32 v11, 0xffffff00, v11
	v_lshl_add_u32 v10, v10, 3, v11
	s_delay_alu instid0(VALU_DEP_1) | instskip(NEXT) | instid1(VALU_DEP_1)
	v_add_nc_u32_e32 v11, v2, v10
	v_sub_nc_u32_e32 v53, v53, v11
	s_delay_alu instid0(VALU_DEP_1)
	v_cmp_lt_i32_e32 vcc_lo, 7, v53
	s_and_b32 exec_lo, exec_lo, vcc_lo
	s_cbranch_execz .LBB4_766
; %bb.763:                              ;   in Loop: Header=BB4_568 Depth=2
	s_cbranch_execnz .LBB4_1889
; %bb.764:                              ;   in Loop: Header=BB4_568 Depth=2
	ds_load_b128 v[64:67], v0
	ds_load_b64 v[69:70], v0
	v_add3_u32 v2, v2, v68, v10
	s_cmp_lt_i32 s30, 0
	s_mov_b32 s12, 0
	s_cselect_b32 s15, -1, 0
	s_delay_alu instid0(VALU_DEP_1) | instskip(SKIP_2) | instid1(VALU_DEP_2)
	v_ashrrev_i32_e32 v68, 31, v2
	s_waitcnt lgkmcnt(1)
	v_add_co_u32 v10, vcc_lo, v64, v2
	v_add_co_ci_u32_e32 v11, vcc_lo, v65, v68, vcc_lo
	v_add_co_u32 v64, vcc_lo, v66, v2
	v_add_co_ci_u32_e32 v65, vcc_lo, v67, v68, vcc_lo
	s_waitcnt lgkmcnt(0)
	v_add_co_u32 v66, vcc_lo, v69, v2
	v_add_co_ci_u32_e32 v67, vcc_lo, v70, v68, vcc_lo
.LBB4_765:                              ;   Parent Loop BB4_55 Depth=1
                                        ;     Parent Loop BB4_568 Depth=2
                                        ; =>    This Inner Loop Header: Depth=3
	flat_load_b64 v[68:69], v[10:11] slc dlc
	flat_load_b64 v[80:81], v[64:65] slc dlc
	v_mov_b32_e32 v70, v3
	v_add_co_u32 v10, vcc_lo, v10, v117
	v_sub_nc_u32_e32 v53, v53, v101
	v_add_co_ci_u32_e32 v11, vcc_lo, v11, v118, vcc_lo
	v_add_co_u32 v64, vcc_lo, v64, v117
	v_add_co_ci_u32_e32 v65, vcc_lo, v65, v118, vcc_lo
	s_delay_alu instid0(VALU_DEP_4) | instskip(SKIP_2) | instid1(VALU_DEP_1)
	v_cmp_gt_i32_e32 vcc_lo, 8, v53
	s_waitcnt vmcnt(0) lgkmcnt(0)
	v_add_co_u32 v68, s13, v80, v68
	v_add_co_ci_u32_e64 v69, s13, v81, v69, s13
	s_delay_alu instid0(VALU_DEP_2) | instskip(NEXT) | instid1(VALU_DEP_2)
	v_sub_co_u32 v2, s14, 0, v68
	v_cmp_gt_i64_e64 s13, 0, v[68:69]
	v_sub_co_ci_u32_e64 v80, s14, 0, v69, s14
	s_delay_alu instid0(VALU_DEP_2) | instskip(SKIP_2) | instid1(VALU_DEP_2)
	s_and_b32 s13, s15, s13
	s_or_b32 s12, vcc_lo, s12
	v_cndmask_b32_e64 v134, v68, v2, s13
	v_cndmask_b32_e64 v133, v69, v80, s13
	s_delay_alu instid0(VALU_DEP_2) | instskip(NEXT) | instid1(VALU_DEP_1)
	v_mul_hi_u32 v2, v134, v8
	v_mad_u64_u32 v[68:69], null, v133, v8, v[2:3]
	s_delay_alu instid0(VALU_DEP_1) | instskip(NEXT) | instid1(VALU_DEP_2)
	v_mov_b32_e32 v2, v68
	v_mad_u64_u32 v[82:83], null, v133, v9, v[69:70]
	s_delay_alu instid0(VALU_DEP_2) | instskip(NEXT) | instid1(VALU_DEP_1)
	v_mad_u64_u32 v[80:81], null, v134, v9, v[2:3]
	v_mov_b32_e32 v2, v81
	s_delay_alu instid0(VALU_DEP_1) | instskip(NEXT) | instid1(VALU_DEP_1)
	v_add_co_u32 v2, s14, v82, v2
	v_add_co_ci_u32_e64 v70, s14, 0, v83, s14
	s_delay_alu instid0(VALU_DEP_2) | instskip(SKIP_1) | instid1(VALU_DEP_3)
	v_mul_lo_u32 v81, v2, s17
	v_mad_u64_u32 v[68:69], null, v2, s16, 0
	v_mul_lo_u32 v80, v70, s16
	s_delay_alu instid0(VALU_DEP_2) | instskip(NEXT) | instid1(VALU_DEP_2)
	v_sub_co_u32 v68, s14, v134, v68
	v_add3_u32 v69, v69, v81, v80
	s_delay_alu instid0(VALU_DEP_1) | instskip(NEXT) | instid1(VALU_DEP_1)
	v_sub_co_ci_u32_e64 v69, s14, v133, v69, s14
	v_cmp_le_u64_e64 s14, s[16:17], v[68:69]
	s_delay_alu instid0(VALU_DEP_1) | instskip(NEXT) | instid1(VALU_DEP_1)
	v_cndmask_b32_e64 v68, 0, 1, s14
	v_add_co_u32 v2, s14, v2, v68
	s_delay_alu instid0(VALU_DEP_1) | instskip(NEXT) | instid1(VALU_DEP_2)
	v_add_co_ci_u32_e64 v68, s14, 0, v70, s14
	v_sub_co_u32 v70, s14, 0, v2
	s_delay_alu instid0(VALU_DEP_1) | instskip(NEXT) | instid1(VALU_DEP_1)
	v_sub_co_ci_u32_e64 v69, s14, 0, v68, s14
	v_cndmask_b32_e64 v69, v68, v69, s13
	s_delay_alu instid0(VALU_DEP_3) | instskip(SKIP_2) | instid1(VALU_DEP_1)
	v_cndmask_b32_e64 v68, v2, v70, s13
	flat_store_b64 v[66:67], v[68:69] glc slc dlc
	v_add_co_u32 v66, s13, v66, v117
	v_add_co_ci_u32_e64 v67, s13, v67, v118, s13
	s_and_not1_b32 exec_lo, exec_lo, s12
	s_cbranch_execnz .LBB4_765
.LBB4_766:                              ;   in Loop: Header=BB4_568 Depth=2
	s_or_b32 exec_lo, exec_lo, s20
.LBB4_767:                              ;   in Loop: Header=BB4_568 Depth=2
	s_delay_alu instid0(SALU_CYCLE_1)
	s_or_b32 exec_lo, exec_lo, s31
.LBB4_768:                              ;   in Loop: Header=BB4_568 Depth=2
	s_and_saveexec_b32 s12, s3
	s_cbranch_execz .LBB4_790
; %bb.769:                              ;   in Loop: Header=BB4_568 Depth=2
	s_and_saveexec_b32 s13, s4
	s_delay_alu instid0(SALU_CYCLE_1)
	s_xor_b32 s13, exec_lo, s13
	s_cbranch_execz .LBB4_787
; %bb.770:                              ;   in Loop: Header=BB4_568 Depth=2
	s_and_saveexec_b32 s14, s1
	s_cbranch_execz .LBB4_786
; %bb.771:                              ;   in Loop: Header=BB4_568 Depth=2
	s_mov_b32 s16, exec_lo
	s_mov_b32 s15, exec_lo
	v_mbcnt_lo_u32_b32 v2, s16, 0
	s_waitcnt lgkmcnt(0)
	s_waitcnt_vscnt null, 0x0
	buffer_gl1_inv
	buffer_gl0_inv
	v_cmpx_eq_u32_e32 0, v2
	s_cbranch_execz .LBB4_773
; %bb.772:                              ;   in Loop: Header=BB4_568 Depth=2
	s_bcnt1_i32_b32 s16, s16
	s_delay_alu instid0(SALU_CYCLE_1)
	v_mov_b32_e32 v2, s16
	ds_add_u64 v0, v[2:3]
	s_cbranch_execnz .LBB4_1791
.LBB4_773:                              ;   in Loop: Header=BB4_568 Depth=2
	s_or_b32 exec_lo, exec_lo, s15
	s_cbranch_execnz .LBB4_1765
; %bb.774:                              ;   in Loop: Header=BB4_568 Depth=2
	ds_load_b64 v[8:9], v0
	v_add_co_u32 v12, vcc_lo, v12, v86
	v_add_co_ci_u32_e32 v13, vcc_lo, 0, v13, vcc_lo
	s_mov_b32 s15, exec_lo
	s_waitcnt lgkmcnt(0)
	s_delay_alu instid0(VALU_DEP_1)
	v_cmpx_lt_u64_e64 v[8:9], v[12:13]
	s_cbranch_execz .LBB4_785
; %bb.775:                              ;   in Loop: Header=BB4_568 Depth=2
	s_mov_b32 s16, 0
	s_mov_b32 s19, 0
                                        ; implicit-def: $sgpr17
                                        ; implicit-def: $sgpr18
	s_branch .LBB4_777
.LBB4_776:                              ;   in Loop: Header=BB4_777 Depth=3
	s_or_b32 exec_lo, exec_lo, s22
	s_delay_alu instid0(SALU_CYCLE_1) | instskip(NEXT) | instid1(SALU_CYCLE_1)
	s_and_b32 s20, exec_lo, s21
	s_or_b32 s16, s20, s16
	s_and_not1_b32 s17, s17, exec_lo
	s_and_b32 s20, s18, exec_lo
	s_delay_alu instid0(SALU_CYCLE_1)
	s_or_b32 s17, s17, s20
	s_and_not1_b32 exec_lo, exec_lo, s16
	s_cbranch_execz .LBB4_783
.LBB4_777:                              ;   Parent Loop BB4_55 Depth=1
                                        ;     Parent Loop BB4_568 Depth=2
                                        ; =>    This Inner Loop Header: Depth=3
	s_add_i32 s19, s19, 1
                                        ; implicit-def: $sgpr21
	s_delay_alu instid0(SALU_CYCLE_1) | instskip(SKIP_1) | instid1(SALU_CYCLE_1)
	s_cmpk_lg_i32 s19, 0x2710
	s_cselect_b32 s20, -1, 0
	s_and_b32 vcc_lo, exec_lo, s20
	s_cbranch_vccz .LBB4_781
.LBB4_778:                              ;   in Loop: Header=BB4_777 Depth=3
	s_and_not1_b32 s18, s18, exec_lo
	s_and_b32 s22, s21, exec_lo
	s_mov_b32 s21, -1
	s_or_b32 s18, s18, s22
	s_and_saveexec_b32 s22, s20
	s_cbranch_execz .LBB4_776
; %bb.779:                              ;   in Loop: Header=BB4_777 Depth=3
	s_sleep 1
	s_cbranch_execnz .LBB4_1845
; %bb.780:                              ;   in Loop: Header=BB4_777 Depth=3
	ds_load_b64 v[8:9], v0
	s_and_not1_b32 s18, s18, exec_lo
	s_waitcnt lgkmcnt(0)
	v_cmp_ge_u64_e32 vcc_lo, v[8:9], v[12:13]
	s_or_not1_b32 s21, vcc_lo, exec_lo
	s_branch .LBB4_776
.LBB4_781:                              ;   in Loop: Header=BB4_777 Depth=3
	s_cbranch_execnz .LBB4_1863
; %bb.782:                              ;   in Loop: Header=BB4_777 Depth=3
	ds_load_b64 v[8:9], v0
	s_and_not1_b32 s20, s20, exec_lo
	s_mov_b32 s19, 0
	s_mov_b32 s21, -1
	s_waitcnt lgkmcnt(0)
	flat_load_b32 v2, v[8:9] glc
	s_waitcnt vmcnt(0) lgkmcnt(0)
	buffer_gl1_inv
	buffer_gl0_inv
	v_cmp_eq_u32_e32 vcc_lo, 0, v2
	s_and_b32 s22, vcc_lo, exec_lo
	s_delay_alu instid0(SALU_CYCLE_1)
	s_or_b32 s20, s20, s22
	s_branch .LBB4_778
.LBB4_783:                              ;   in Loop: Header=BB4_568 Depth=2
	s_or_b32 exec_lo, exec_lo, s16
	s_and_saveexec_b32 s16, s17
	s_delay_alu instid0(SALU_CYCLE_1)
	s_xor_b32 s16, exec_lo, s16
	s_cbranch_execz .LBB4_785
; %bb.784:                              ;   in Loop: Header=BB4_568 Depth=2
	ds_store_b32 v0, v131
	s_cbranch_execnz .LBB4_1967
.LBB4_785:                              ;   in Loop: Header=BB4_568 Depth=2
	s_or_b32 exec_lo, exec_lo, s15
	;;#ASMSTART
	s_wakeup
	;;#ASMEND
.LBB4_786:                              ;   in Loop: Header=BB4_568 Depth=2
	s_or_b32 exec_lo, exec_lo, s14
.LBB4_787:                              ;   in Loop: Header=BB4_568 Depth=2
	s_and_not1_saveexec_b32 s13, s13
	s_cbranch_execz .LBB4_789
; %bb.788:                              ;   in Loop: Header=BB4_568 Depth=2
	s_waitcnt lgkmcnt(0)
	s_waitcnt_vscnt null, 0x0
	buffer_gl1_inv
	buffer_gl0_inv
	s_barrier
.LBB4_789:                              ;   in Loop: Header=BB4_568 Depth=2
	s_or_b32 exec_lo, exec_lo, s13
.LBB4_790:                              ;   in Loop: Header=BB4_568 Depth=2
	s_delay_alu instid0(SALU_CYCLE_1) | instskip(SKIP_1) | instid1(SALU_CYCLE_1)
	s_or_b32 exec_lo, exec_lo, s12
                                        ; implicit-def: $vgpr2
	s_and_saveexec_b32 s12, s7
	s_xor_b32 s12, exec_lo, s12
	s_cbranch_execz .LBB4_794
; %bb.791:                              ;   in Loop: Header=BB4_568 Depth=2
	v_and_b32_e32 v2, 16, v30
	v_cmp_lt_i32_e32 vcc_lo, 0, v51
	s_delay_alu instid0(VALU_DEP_2) | instskip(SKIP_1) | instid1(VALU_DEP_2)
	v_cmp_ne_u32_e64 s13, 0, v2
	v_and_b32_e32 v2, 16, v30
	s_and_b32 s14, s13, vcc_lo
	s_delay_alu instid0(SALU_CYCLE_1)
	s_and_saveexec_b32 s13, s14
	s_cbranch_execz .LBB4_793
; %bb.792:                              ;   in Loop: Header=BB4_568 Depth=2
	v_mov_b32_e32 v2, 1
	s_waitcnt lgkmcnt(0)
	s_waitcnt_vscnt null, 0x0
	buffer_gl1_inv
	buffer_gl0_inv
.LBB4_793:                              ;   in Loop: Header=BB4_568 Depth=2
	s_or_b32 exec_lo, exec_lo, s13
.LBB4_794:                              ;   in Loop: Header=BB4_568 Depth=2
	s_and_not1_saveexec_b32 s12, s12
	s_cbranch_execz .LBB4_816
; %bb.795:                              ;   in Loop: Header=BB4_568 Depth=2
	s_and_saveexec_b32 s13, s4
	s_delay_alu instid0(SALU_CYCLE_1)
	s_xor_b32 s13, exec_lo, s13
	s_cbranch_execz .LBB4_813
; %bb.796:                              ;   in Loop: Header=BB4_568 Depth=2
	s_and_saveexec_b32 s14, s1
	s_cbranch_execz .LBB4_812
; %bb.797:                              ;   in Loop: Header=BB4_568 Depth=2
	s_mov_b32 s16, exec_lo
	s_mov_b32 s15, exec_lo
	v_mbcnt_lo_u32_b32 v2, s16, 0
	;;#ASMSTART
	s_waitcnt lgkmcnt(0) vmcnt(0)
	;;#ASMEND
	s_delay_alu instid0(VALU_DEP_1)
	v_cmpx_eq_u32_e32 0, v2
	s_cbranch_execz .LBB4_799
; %bb.798:                              ;   in Loop: Header=BB4_568 Depth=2
	s_bcnt1_i32_b32 s16, s16
	s_delay_alu instid0(SALU_CYCLE_1)
	v_mov_b32_e32 v2, s16
	ds_add_u64 v0, v[2:3]
	s_cbranch_execnz .LBB4_1795
.LBB4_799:                              ;   in Loop: Header=BB4_568 Depth=2
	s_or_b32 exec_lo, exec_lo, s15
	s_cbranch_execnz .LBB4_1769
; %bb.800:                              ;   in Loop: Header=BB4_568 Depth=2
	ds_load_b64 v[8:9], v0
	v_add_co_u32 v12, vcc_lo, v12, v86
	v_add_co_ci_u32_e32 v13, vcc_lo, 0, v13, vcc_lo
	s_mov_b32 s15, exec_lo
	s_waitcnt lgkmcnt(0)
	s_delay_alu instid0(VALU_DEP_1)
	v_cmpx_lt_u64_e64 v[8:9], v[12:13]
	s_cbranch_execz .LBB4_811
; %bb.801:                              ;   in Loop: Header=BB4_568 Depth=2
	s_mov_b32 s16, 0
	s_mov_b32 s19, 0
                                        ; implicit-def: $sgpr17
                                        ; implicit-def: $sgpr18
	s_branch .LBB4_803
.LBB4_802:                              ;   in Loop: Header=BB4_803 Depth=3
	s_or_b32 exec_lo, exec_lo, s22
	s_delay_alu instid0(SALU_CYCLE_1) | instskip(NEXT) | instid1(SALU_CYCLE_1)
	s_and_b32 s20, exec_lo, s21
	s_or_b32 s16, s20, s16
	s_and_not1_b32 s17, s17, exec_lo
	s_and_b32 s20, s18, exec_lo
	s_delay_alu instid0(SALU_CYCLE_1)
	s_or_b32 s17, s17, s20
	s_and_not1_b32 exec_lo, exec_lo, s16
	s_cbranch_execz .LBB4_809
.LBB4_803:                              ;   Parent Loop BB4_55 Depth=1
                                        ;     Parent Loop BB4_568 Depth=2
                                        ; =>    This Inner Loop Header: Depth=3
	s_add_i32 s19, s19, 1
                                        ; implicit-def: $sgpr21
	s_delay_alu instid0(SALU_CYCLE_1) | instskip(SKIP_1) | instid1(SALU_CYCLE_1)
	s_cmpk_lg_i32 s19, 0x2710
	s_cselect_b32 s20, -1, 0
	s_and_b32 vcc_lo, exec_lo, s20
	s_cbranch_vccz .LBB4_807
.LBB4_804:                              ;   in Loop: Header=BB4_803 Depth=3
	s_and_not1_b32 s18, s18, exec_lo
	s_and_b32 s22, s21, exec_lo
	s_mov_b32 s21, -1
	s_or_b32 s18, s18, s22
	s_and_saveexec_b32 s22, s20
	s_cbranch_execz .LBB4_802
; %bb.805:                              ;   in Loop: Header=BB4_803 Depth=3
	s_sleep 1
	s_cbranch_execnz .LBB4_1851
; %bb.806:                              ;   in Loop: Header=BB4_803 Depth=3
	ds_load_b64 v[8:9], v0
	s_and_not1_b32 s18, s18, exec_lo
	s_waitcnt lgkmcnt(0)
	v_cmp_ge_u64_e32 vcc_lo, v[8:9], v[12:13]
	s_or_not1_b32 s21, vcc_lo, exec_lo
	s_branch .LBB4_802
.LBB4_807:                              ;   in Loop: Header=BB4_803 Depth=3
	s_cbranch_execnz .LBB4_1869
; %bb.808:                              ;   in Loop: Header=BB4_803 Depth=3
	ds_load_b64 v[8:9], v0
	s_and_not1_b32 s20, s20, exec_lo
	s_mov_b32 s19, 0
	s_mov_b32 s21, -1
	s_waitcnt lgkmcnt(0)
	s_waitcnt_vscnt null, 0x0
	flat_load_b32 v2, v[8:9] glc
	s_waitcnt vmcnt(0) lgkmcnt(0)
	buffer_gl1_inv
	buffer_gl0_inv
	v_cmp_eq_u32_e32 vcc_lo, 0, v2
	s_and_b32 s22, vcc_lo, exec_lo
	s_delay_alu instid0(SALU_CYCLE_1)
	s_or_b32 s20, s20, s22
	s_branch .LBB4_804
.LBB4_809:                              ;   in Loop: Header=BB4_568 Depth=2
	s_or_b32 exec_lo, exec_lo, s16
	s_and_saveexec_b32 s16, s17
	s_delay_alu instid0(SALU_CYCLE_1)
	s_xor_b32 s16, exec_lo, s16
	s_cbranch_execz .LBB4_811
; %bb.810:                              ;   in Loop: Header=BB4_568 Depth=2
	ds_store_b32 v0, v131
	s_cbranch_execnz .LBB4_1969
.LBB4_811:                              ;   in Loop: Header=BB4_568 Depth=2
	s_or_b32 exec_lo, exec_lo, s15
	;;#ASMSTART
	s_wakeup
	;;#ASMEND
.LBB4_812:                              ;   in Loop: Header=BB4_568 Depth=2
	s_or_b32 exec_lo, exec_lo, s14
.LBB4_813:                              ;   in Loop: Header=BB4_568 Depth=2
	s_and_not1_saveexec_b32 s13, s13
	s_cbranch_execz .LBB4_815
; %bb.814:                              ;   in Loop: Header=BB4_568 Depth=2
	;;#ASMSTART
	s_waitcnt lgkmcnt(0) vmcnt(0)
	;;#ASMEND
	s_waitcnt lgkmcnt(0)
	s_waitcnt_vscnt null, 0x0
	s_barrier
.LBB4_815:                              ;   in Loop: Header=BB4_568 Depth=2
	s_or_b32 exec_lo, exec_lo, s13
	v_and_b32_e32 v2, 16, v30
.LBB4_816:                              ;   in Loop: Header=BB4_568 Depth=2
	s_or_b32 exec_lo, exec_lo, s12
	s_delay_alu instid0(VALU_DEP_1) | instskip(SKIP_1) | instid1(SALU_CYCLE_1)
	v_cmp_ne_u32_e32 vcc_lo, 0, v2
	s_xor_b32 s12, s10, -1
	s_and_b32 s13, vcc_lo, s12
	s_delay_alu instid0(SALU_CYCLE_1)
	s_and_saveexec_b32 s12, s13
	s_cbranch_execz .LBB4_818
; %bb.817:                              ;   in Loop: Header=BB4_568 Depth=2
	s_waitcnt lgkmcnt(0)
	s_waitcnt_vscnt null, 0x0
	flat_store_b32 v[26:27], v131
.LBB4_818:                              ;   in Loop: Header=BB4_568 Depth=2
	s_or_b32 exec_lo, exec_lo, s12
	v_and_b32_e32 v2, 48, v30
	s_mov_b32 s12, exec_lo
	s_delay_alu instid0(VALU_DEP_1)
	v_cmpx_ne_u32_e32 0, v2
	s_cbranch_execz .LBB4_820
; %bb.819:                              ;   in Loop: Header=BB4_568 Depth=2
	v_add_co_u32 v22, vcc_lo, v22, 2
	v_add_co_ci_u32_e32 v23, vcc_lo, 0, v23, vcc_lo
	s_waitcnt lgkmcnt(0)
	s_waitcnt_vscnt null, 0x0
	flat_store_b64 v[20:21], v[22:23]
.LBB4_820:                              ;   in Loop: Header=BB4_568 Depth=2
	s_or_b32 exec_lo, exec_lo, s12
	v_add_nc_u32_e32 v52, v50, v52
	v_readlane_b32 s12, v42, 4
	v_readlane_b32 s15, v42, 6
	;; [unrolled: 1-line block ×4, first 2 shown]
	v_cmp_ge_i32_e32 vcc_lo, v52, v132
	s_xor_b32 s12, s12, -1
	v_readlane_b32 s31, v42, 9
	v_readlane_b32 s34, v42, 11
	;; [unrolled: 1-line block ×3, first 2 shown]
	s_or_b32 s12, s12, vcc_lo
	v_readlane_b32 s18, v42, 12
	s_and_b32 s13, exec_lo, s12
	v_readlane_b32 s12, v42, 5
	v_readlane_b32 s23, v42, 13
	;; [unrolled: 1-line block ×5, first 2 shown]
	v_mov_b32_e32 v2, s12
	v_readlane_b32 s37, v42, 17
	s_or_b32 s15, s13, s15
	s_mov_b32 s21, 0
	s_mov_b32 s13, 2
	;; [unrolled: 1-line block ×3, first 2 shown]
	s_and_not1_b32 exec_lo, exec_lo, s15
	s_cbranch_execnz .LBB4_568
; %bb.821:                              ;   in Loop: Header=BB4_55 Depth=1
	s_or_b32 exec_lo, exec_lo, s15
	v_readlane_b32 s3, v42, 3
.LBB4_822:                              ;   in Loop: Header=BB4_55 Depth=1
	s_delay_alu instid0(VALU_DEP_1) | instskip(NEXT) | instid1(SALU_CYCLE_1)
	s_or_b32 exec_lo, exec_lo, s3
	s_mov_b32 s12, exec_lo
	v_cmpx_gt_i32_e32 2, v2
	s_cbranch_execz .LBB4_908
; %bb.823:                              ;   in Loop: Header=BB4_55 Depth=1
	v_cmp_eq_u32_e64 s13, 0, v2
	s_mov_b32 s15, s37
	s_mov_b32 s16, 0
.LBB4_824:                              ;   Parent Loop BB4_55 Depth=1
                                        ; =>  This Loop Header: Depth=2
                                        ;       Child Loop BB4_830 Depth 3
                                        ;       Child Loop BB4_862 Depth 3
	;; [unrolled: 1-line block ×3, first 2 shown]
	v_and_b32_e32 v2, 12, v30
	s_mov_b32 s17, -1
	s_mov_b32 s3, exec_lo
	s_delay_alu instid0(VALU_DEP_1)
	v_cmpx_ne_u32_e32 0, v2
	s_cbranch_execz .LBB4_838
; %bb.825:                              ;   in Loop: Header=BB4_824 Depth=2
	v_and_b32_e32 v2, 8, v30
	s_delay_alu instid0(VALU_DEP_1) | instskip(SKIP_3) | instid1(VALU_DEP_1)
	v_add_co_u32 v10, vcc_lo, v28, v2
	v_add_co_ci_u32_e32 v11, vcc_lo, 0, v29, vcc_lo
	v_add_co_u32 v8, vcc_lo, v22, 2
	v_add_co_ci_u32_e32 v9, vcc_lo, 0, v23, vcc_lo
	v_cmp_lt_u64_e32 vcc_lo, v[10:11], v[8:9]
	v_mov_b32_e32 v10, 1
	s_and_saveexec_b32 s17, vcc_lo
	s_cbranch_execz .LBB4_837
; %bb.826:                              ;   in Loop: Header=BB4_824 Depth=2
	v_mov_b32_e32 v10, 0
	s_mov_b32 s19, 0
                                        ; implicit-def: $sgpr21
	s_branch .LBB4_830
.LBB4_827:                              ;   in Loop: Header=BB4_830 Depth=3
	s_or_b32 exec_lo, exec_lo, s42
	v_mov_b32_e32 v11, 0
	s_or_not1_b32 s41, s41, exec_lo
.LBB4_828:                              ;   in Loop: Header=BB4_830 Depth=3
	s_or_b32 exec_lo, exec_lo, s40
	s_delay_alu instid0(VALU_DEP_1) | instskip(SKIP_2) | instid1(SALU_CYCLE_1)
	v_mov_b32_e32 v10, v11
	s_and_not1_b32 s21, s21, exec_lo
	s_and_b32 vcc_lo, s41, exec_lo
	s_or_b32 s21, s21, vcc_lo
.LBB4_829:                              ;   in Loop: Header=BB4_830 Depth=3
	s_or_b32 exec_lo, exec_lo, s37
	s_waitcnt vmcnt(0) lgkmcnt(0)
	v_add_co_u32 v53, vcc_lo, v28, v2
	v_add_co_ci_u32_e32 v54, vcc_lo, 0, v29, vcc_lo
	s_xor_b32 s37, s21, -1
	s_delay_alu instid0(VALU_DEP_1) | instskip(SKIP_1) | instid1(SALU_CYCLE_1)
	v_cmp_ge_u64_e32 vcc_lo, v[53:54], v[8:9]
	s_or_b32 vcc_lo, s37, vcc_lo
	s_and_b32 vcc_lo, exec_lo, vcc_lo
	s_delay_alu instid0(SALU_CYCLE_1) | instskip(NEXT) | instid1(SALU_CYCLE_1)
	s_or_b32 s19, vcc_lo, s19
	s_and_not1_b32 exec_lo, exec_lo, s19
	s_cbranch_execz .LBB4_836
.LBB4_830:                              ;   Parent Loop BB4_55 Depth=1
                                        ;     Parent Loop BB4_824 Depth=2
                                        ; =>    This Inner Loop Header: Depth=3
	s_sleep 1
	flat_load_b64 v[28:29], v[20:21] glc
	v_and_b32_e32 v11, 64, v30
	s_and_not1_b32 s21, s21, exec_lo
	s_mov_b32 s37, exec_lo
	s_delay_alu instid0(VALU_DEP_1)
	v_cmpx_eq_u32_e32 0, v11
	s_cbranch_execz .LBB4_829
; %bb.831:                              ;   in Loop: Header=BB4_830 Depth=3
	v_add_nc_u32_e32 v11, 1, v10
	s_mov_b32 s41, -1
	s_mov_b32 s40, exec_lo
	v_cmpx_lt_i32_e32 0x270e, v10
	s_cbranch_execz .LBB4_828
; %bb.832:                              ;   in Loop: Header=BB4_830 Depth=3
	s_cbranch_execnz .LBB4_1565
; %bb.833:                              ;   in Loop: Header=BB4_830 Depth=3
	ds_load_b64 v[10:11], v0
	s_mov_b32 s42, exec_lo
	s_waitcnt vmcnt(0) lgkmcnt(0)
	s_waitcnt_vscnt null, 0x0
	flat_load_b32 v10, v[10:11] glc
	s_waitcnt vmcnt(0) lgkmcnt(0)
	buffer_gl1_inv
	buffer_gl0_inv
	v_cmpx_ne_u32_e32 0, v10
	s_cbranch_execz .LBB4_827
; %bb.834:                              ;   in Loop: Header=BB4_830 Depth=3
	ds_store_b32 v0, v10
	s_cbranch_execnz .LBB4_1619
; %bb.835:                              ;   in Loop: Header=BB4_830 Depth=3
	v_or_b32_e32 v30, 64, v30
	s_xor_b32 s41, exec_lo, -1
	s_branch .LBB4_827
.LBB4_836:                              ;   in Loop: Header=BB4_824 Depth=2
	s_or_b32 exec_lo, exec_lo, s19
	v_and_b32_e32 v10, 12, v30
.LBB4_837:                              ;   in Loop: Header=BB4_824 Depth=2
	s_or_b32 exec_lo, exec_lo, s17
	s_delay_alu instid0(VALU_DEP_1)
	v_cmp_eq_u32_e32 vcc_lo, 0, v10
	;;#ASMSTART
	s_wakeup
	;;#ASMEND
	s_or_not1_b32 s17, vcc_lo, exec_lo
.LBB4_838:                              ;   in Loop: Header=BB4_824 Depth=2
	s_or_b32 exec_lo, exec_lo, s3
	v_sub_nc_u32_e32 v2, v132, v52
	s_xor_b32 s3, s13, -1
	s_delay_alu instid0(SALU_CYCLE_1) | instskip(NEXT) | instid1(SALU_CYCLE_1)
	s_and_b32 s3, exec_lo, s3
	s_or_b32 s16, s3, s16
	s_delay_alu instid0(VALU_DEP_1) | instskip(SKIP_1) | instid1(SALU_CYCLE_1)
	v_min_i32_e32 v50, v50, v2
	s_xor_b32 s13, s17, -1
	s_and_saveexec_b32 s3, s13
	s_cbranch_execz .LBB4_853
; %bb.839:                              ;   in Loop: Header=BB4_824 Depth=2
	v_and_b32_e32 v2, 0x108, v30
	s_mov_b32 s13, exec_lo
	s_delay_alu instid0(VALU_DEP_1)
	v_cmpx_ne_u32_e32 0x108, v2
	s_xor_b32 s13, exec_lo, s13
                                        ; implicit-def: $vgpr8_vgpr9
; %bb.840:                              ;   in Loop: Header=BB4_824 Depth=2
	v_and_b32_e32 v8, 7, v22
; %bb.841:                              ;   in Loop: Header=BB4_824 Depth=2
	s_and_not1_saveexec_b32 s13, s13
	s_cbranch_execz .LBB4_843
; %bb.842:                              ;   in Loop: Header=BB4_824 Depth=2
	v_and_b32_e32 v8, 7, v22
	v_ashrrev_i32_e32 v51, 31, v50
	s_delay_alu instid0(VALU_DEP_2) | instskip(NEXT) | instid1(VALU_DEP_2)
	v_mad_u64_u32 v[9:10], null, v8, 24, v[6:7]
	v_lshlrev_b64 v[53:54], 3, v[50:51]
	flat_store_b64 v[9:10], v[53:54] offset:8
.LBB4_843:                              ;   in Loop: Header=BB4_824 Depth=2
	s_or_b32 exec_lo, exec_lo, s13
	v_and_b32_e32 v2, 0x100, v30
	s_mov_b32 s13, -1
	s_mov_b32 s17, exec_lo
                                        ; implicit-def: $vgpr9_vgpr10
	s_delay_alu instid0(VALU_DEP_1)
	v_cmpx_ne_u32_e32 0, v2
	s_cbranch_execz .LBB4_848
; %bb.844:                              ;   in Loop: Header=BB4_824 Depth=2
	v_mad_u64_u32 v[53:54], null, v8, 24, v[6:7]
	s_mov_b32 s19, exec_lo
	s_delay_alu instid0(VALU_DEP_1) | instskip(NEXT) | instid1(VALU_DEP_1)
	v_mov_b32_e32 v2, v54
	v_mad_u64_u32 v[9:10], null, v3, 24, v[2:3]
	s_delay_alu instid0(VALU_DEP_1)
	v_mov_b32_e32 v54, v9
                                        ; implicit-def: $vgpr9_vgpr10
	flat_load_b32 v2, v[53:54]
	s_waitcnt vmcnt(0) lgkmcnt(0)
	v_cmp_ne_u32_e32 vcc_lo, 1, v2
	v_cmpx_eq_u32_e32 1, v2
	s_cbranch_execz .LBB4_846
; %bb.845:                              ;   in Loop: Header=BB4_824 Depth=2
	flat_load_b32 v9, v[53:54] offset:4 glc
	s_waitcnt vmcnt(0) lgkmcnt(0)
	v_ashrrev_i32_e32 v10, 31, v9
	s_delay_alu instid0(VALU_DEP_1)
	v_lshrrev_b64 v[9:10], 3, v[9:10]
.LBB4_846:                              ;   in Loop: Header=BB4_824 Depth=2
	s_or_b32 exec_lo, exec_lo, s19
	s_delay_alu instid0(SALU_CYCLE_1)
	s_or_not1_b32 s13, vcc_lo, exec_lo
	s_or_b32 exec_lo, exec_lo, s17
	s_and_saveexec_b32 s17, s13
	s_cbranch_execnz .LBB4_849
.LBB4_847:                              ;   in Loop: Header=BB4_824 Depth=2
	s_or_b32 exec_lo, exec_lo, s17
	s_cbranch_execz .LBB4_850
	s_branch .LBB4_1561
.LBB4_848:                              ;   in Loop: Header=BB4_824 Depth=2
	s_or_b32 exec_lo, exec_lo, s17
	s_and_saveexec_b32 s17, s13
	s_cbranch_execz .LBB4_847
.LBB4_849:                              ;   in Loop: Header=BB4_824 Depth=2
	v_mul_lo_u32 v2, v3, v84
	v_mul_lo_u32 v11, v8, v85
	v_mad_u64_u32 v[9:10], null, v8, v84, 0
	s_delay_alu instid0(VALU_DEP_1)
	v_add3_u32 v10, v10, v11, v2
	s_or_b32 exec_lo, exec_lo, s17
	s_cbranch_execnz .LBB4_1561
.LBB4_850:                              ;   in Loop: Header=BB4_824 Depth=2
	s_delay_alu instid0(VALU_DEP_1) | instskip(SKIP_2) | instid1(VALU_DEP_2)
	v_lshlrev_b64 v[8:9], 3, v[9:10]
	v_and_b32_e32 v2, 0x2000, v30
	s_mov_b32 s13, exec_lo
	v_add_co_u32 v8, vcc_lo, v24, v8
	s_delay_alu instid0(VALU_DEP_3)
	v_add_co_ci_u32_e32 v9, vcc_lo, v25, v9, vcc_lo
	ds_store_b64 v0, v[8:9]
	v_cmpx_ne_u32_e32 0, v2
	s_cbranch_execz .LBB4_852
; %bb.851:                              ;   in Loop: Header=BB4_824 Depth=2
	ds_load_b64 v[8:9], v0 offset:584
	s_waitcnt lgkmcnt(0)
	v_add_co_u32 v8, vcc_lo, v8, 1
	v_add_co_ci_u32_e32 v9, vcc_lo, 0, v9, vcc_lo
	ds_store_b64 v0, v[8:9] offset:584
.LBB4_852:                              ;   in Loop: Header=BB4_824 Depth=2
	s_or_b32 exec_lo, exec_lo, s13
	v_add_co_u32 v22, vcc_lo, v22, 2
	v_add_co_ci_u32_e32 v23, vcc_lo, 0, v23, vcc_lo
.LBB4_853:                              ;   in Loop: Header=BB4_824 Depth=2
	s_or_b32 exec_lo, exec_lo, s3
	s_and_saveexec_b32 s13, s38
	s_cbranch_execz .LBB4_875
; %bb.854:                              ;   in Loop: Header=BB4_824 Depth=2
	s_and_saveexec_b32 s3, s4
	s_delay_alu instid0(SALU_CYCLE_1)
	s_xor_b32 s3, exec_lo, s3
	s_cbranch_execz .LBB4_872
; %bb.855:                              ;   in Loop: Header=BB4_824 Depth=2
	s_and_saveexec_b32 s17, s1
	s_cbranch_execz .LBB4_871
; %bb.856:                              ;   in Loop: Header=BB4_824 Depth=2
	s_mov_b32 s21, exec_lo
	s_mov_b32 s19, exec_lo
	v_mbcnt_lo_u32_b32 v2, s21, 0
	s_waitcnt lgkmcnt(0)
	s_waitcnt_vscnt null, 0x0
	buffer_gl1_inv
	buffer_gl0_inv
	v_cmpx_eq_u32_e32 0, v2
	s_cbranch_execz .LBB4_858
; %bb.857:                              ;   in Loop: Header=BB4_824 Depth=2
	s_bcnt1_i32_b32 s21, s21
	s_delay_alu instid0(SALU_CYCLE_1)
	v_mov_b32_e32 v2, s21
	ds_add_u64 v0, v[2:3]
	s_cbranch_execnz .LBB4_1675
.LBB4_858:                              ;   in Loop: Header=BB4_824 Depth=2
	s_or_b32 exec_lo, exec_lo, s19
	s_cbranch_execnz .LBB4_1649
; %bb.859:                              ;   in Loop: Header=BB4_824 Depth=2
	ds_load_b64 v[8:9], v0
	v_add_co_u32 v12, vcc_lo, v12, v86
	v_add_co_ci_u32_e32 v13, vcc_lo, 0, v13, vcc_lo
	s_mov_b32 s19, exec_lo
	s_waitcnt lgkmcnt(0)
	s_delay_alu instid0(VALU_DEP_1)
	v_cmpx_lt_u64_e64 v[8:9], v[12:13]
	s_cbranch_execz .LBB4_870
; %bb.860:                              ;   in Loop: Header=BB4_824 Depth=2
	s_mov_b32 s21, 0
	s_mov_b32 s41, 0
                                        ; implicit-def: $sgpr37
                                        ; implicit-def: $sgpr40
	s_branch .LBB4_862
.LBB4_861:                              ;   in Loop: Header=BB4_862 Depth=3
	s_or_b32 exec_lo, exec_lo, s43
	s_delay_alu instid0(SALU_CYCLE_1) | instskip(NEXT) | instid1(SALU_CYCLE_1)
	s_and_b32 vcc_lo, exec_lo, vcc_lo
	s_or_b32 s21, vcc_lo, s21
	s_and_not1_b32 vcc_lo, s37, exec_lo
	s_and_b32 s37, s40, exec_lo
	s_delay_alu instid0(SALU_CYCLE_1)
	s_or_b32 s37, vcc_lo, s37
	s_and_not1_b32 exec_lo, exec_lo, s21
	s_cbranch_execz .LBB4_868
.LBB4_862:                              ;   Parent Loop BB4_55 Depth=1
                                        ;     Parent Loop BB4_824 Depth=2
                                        ; =>    This Inner Loop Header: Depth=3
	s_add_i32 s41, s41, 1
                                        ; implicit-def: $sgpr43
	s_delay_alu instid0(SALU_CYCLE_1) | instskip(SKIP_1) | instid1(SALU_CYCLE_1)
	s_cmpk_lg_i32 s41, 0x2710
	s_cselect_b32 s42, -1, 0
	s_and_b32 vcc_lo, exec_lo, s42
	s_cbranch_vccz .LBB4_866
.LBB4_863:                              ;   in Loop: Header=BB4_862 Depth=3
	s_and_not1_b32 s40, s40, exec_lo
	s_and_b32 s43, s43, exec_lo
	s_mov_b32 vcc_lo, -1
	s_or_b32 s40, s40, s43
	s_and_saveexec_b32 s43, s42
	s_cbranch_execz .LBB4_861
; %bb.864:                              ;   in Loop: Header=BB4_862 Depth=3
	s_sleep 1
	s_cbranch_execnz .LBB4_1723
; %bb.865:                              ;   in Loop: Header=BB4_862 Depth=3
	ds_load_b64 v[8:9], v0
	s_and_not1_b32 s40, s40, exec_lo
	s_waitcnt lgkmcnt(0)
	v_cmp_ge_u64_e32 vcc_lo, v[8:9], v[12:13]
	s_or_not1_b32 vcc_lo, vcc_lo, exec_lo
	s_branch .LBB4_861
.LBB4_866:                              ;   in Loop: Header=BB4_862 Depth=3
	s_cbranch_execnz .LBB4_1739
; %bb.867:                              ;   in Loop: Header=BB4_862 Depth=3
	ds_load_b64 v[8:9], v0
	s_and_not1_b32 s42, s42, exec_lo
	s_mov_b32 s41, 0
	s_mov_b32 s43, -1
	s_waitcnt lgkmcnt(0)
	flat_load_b32 v2, v[8:9] glc
	s_waitcnt vmcnt(0) lgkmcnt(0)
	buffer_gl1_inv
	buffer_gl0_inv
	v_cmp_eq_u32_e32 vcc_lo, 0, v2
	s_and_b32 vcc_lo, vcc_lo, exec_lo
	s_delay_alu instid0(SALU_CYCLE_1)
	s_or_b32 s42, s42, vcc_lo
	s_branch .LBB4_863
.LBB4_868:                              ;   in Loop: Header=BB4_824 Depth=2
	s_or_b32 exec_lo, exec_lo, s21
	s_and_saveexec_b32 s21, s37
	s_delay_alu instid0(SALU_CYCLE_1)
	s_xor_b32 s21, exec_lo, s21
	s_cbranch_execz .LBB4_870
; %bb.869:                              ;   in Loop: Header=BB4_824 Depth=2
	ds_store_b32 v0, v131
	s_cbranch_execnz .LBB4_1929
.LBB4_870:                              ;   in Loop: Header=BB4_824 Depth=2
	s_or_b32 exec_lo, exec_lo, s19
	;;#ASMSTART
	s_wakeup
	;;#ASMEND
.LBB4_871:                              ;   in Loop: Header=BB4_824 Depth=2
	s_or_b32 exec_lo, exec_lo, s17
.LBB4_872:                              ;   in Loop: Header=BB4_824 Depth=2
	s_and_not1_saveexec_b32 s3, s3
	s_cbranch_execz .LBB4_874
; %bb.873:                              ;   in Loop: Header=BB4_824 Depth=2
	s_waitcnt lgkmcnt(0)
	s_waitcnt_vscnt null, 0x0
	buffer_gl1_inv
	buffer_gl0_inv
	s_barrier
.LBB4_874:                              ;   in Loop: Header=BB4_824 Depth=2
	s_or_b32 exec_lo, exec_lo, s3
.LBB4_875:                              ;   in Loop: Header=BB4_824 Depth=2
	s_delay_alu instid0(SALU_CYCLE_1) | instskip(SKIP_1) | instid1(SALU_CYCLE_1)
	s_or_b32 exec_lo, exec_lo, s13
                                        ; implicit-def: $vgpr2
	s_and_saveexec_b32 s3, s7
	s_xor_b32 s3, exec_lo, s3
	s_cbranch_execz .LBB4_880
; %bb.876:                              ;   in Loop: Header=BB4_824 Depth=2
	s_cbranch_execnz .LBB4_1575
; %bb.877:                              ;   in Loop: Header=BB4_824 Depth=2
	ds_load_b32 v2, v0
	v_cmp_lt_i32_e32 vcc_lo, 0, v50
	s_waitcnt lgkmcnt(0)
	v_readfirstlane_b32 s13, v2
	v_and_b32_e32 v2, 16, v30
	s_delay_alu instid0(VALU_DEP_2) | instskip(NEXT) | instid1(VALU_DEP_1)
	s_cmp_eq_u32 s13, 0
	v_cmp_ne_u32_e64 s13, 0, v2
	s_cselect_b32 s17, -1, 0
	v_and_b32_e32 v2, 16, v30
	s_and_b32 s17, vcc_lo, s17
	s_delay_alu instid0(VALU_DEP_2) | instid1(SALU_CYCLE_1)
	s_and_b32 s17, s13, s17
	s_delay_alu instid0(SALU_CYCLE_1)
	s_and_saveexec_b32 s13, s17
	s_cbranch_execz .LBB4_879
; %bb.878:                              ;   in Loop: Header=BB4_824 Depth=2
	v_mov_b32_e32 v2, 1
	s_waitcnt_vscnt null, 0x0
	buffer_gl1_inv
	buffer_gl0_inv
.LBB4_879:                              ;   in Loop: Header=BB4_824 Depth=2
	s_or_b32 exec_lo, exec_lo, s13
.LBB4_880:                              ;   in Loop: Header=BB4_824 Depth=2
	s_and_not1_saveexec_b32 s13, s3
	s_cbranch_execz .LBB4_902
; %bb.881:                              ;   in Loop: Header=BB4_824 Depth=2
	s_and_saveexec_b32 s3, s4
	s_delay_alu instid0(SALU_CYCLE_1)
	s_xor_b32 s3, exec_lo, s3
	s_cbranch_execz .LBB4_899
; %bb.882:                              ;   in Loop: Header=BB4_824 Depth=2
	s_and_saveexec_b32 s17, s1
	s_cbranch_execz .LBB4_898
; %bb.883:                              ;   in Loop: Header=BB4_824 Depth=2
	s_mov_b32 s21, exec_lo
	s_mov_b32 s19, exec_lo
	v_mbcnt_lo_u32_b32 v2, s21, 0
	;;#ASMSTART
	s_waitcnt lgkmcnt(0) vmcnt(0)
	;;#ASMEND
	s_delay_alu instid0(VALU_DEP_1)
	v_cmpx_eq_u32_e32 0, v2
	s_cbranch_execz .LBB4_885
; %bb.884:                              ;   in Loop: Header=BB4_824 Depth=2
	s_bcnt1_i32_b32 s21, s21
	s_delay_alu instid0(SALU_CYCLE_1)
	v_mov_b32_e32 v2, s21
	ds_add_u64 v0, v[2:3]
	s_cbranch_execnz .LBB4_1685
.LBB4_885:                              ;   in Loop: Header=BB4_824 Depth=2
	s_or_b32 exec_lo, exec_lo, s19
	s_cbranch_execnz .LBB4_1673
; %bb.886:                              ;   in Loop: Header=BB4_824 Depth=2
	ds_load_b64 v[8:9], v0
	v_add_co_u32 v12, vcc_lo, v12, v86
	v_add_co_ci_u32_e32 v13, vcc_lo, 0, v13, vcc_lo
	s_mov_b32 s19, exec_lo
	s_waitcnt lgkmcnt(0)
	s_delay_alu instid0(VALU_DEP_1)
	v_cmpx_lt_u64_e64 v[8:9], v[12:13]
	s_cbranch_execz .LBB4_897
; %bb.887:                              ;   in Loop: Header=BB4_824 Depth=2
	s_mov_b32 s21, 0
	s_mov_b32 s41, 0
                                        ; implicit-def: $sgpr37
                                        ; implicit-def: $sgpr40
	s_branch .LBB4_889
.LBB4_888:                              ;   in Loop: Header=BB4_889 Depth=3
	s_or_b32 exec_lo, exec_lo, s43
	s_delay_alu instid0(SALU_CYCLE_1) | instskip(NEXT) | instid1(SALU_CYCLE_1)
	s_and_b32 vcc_lo, exec_lo, vcc_lo
	s_or_b32 s21, vcc_lo, s21
	s_and_not1_b32 vcc_lo, s37, exec_lo
	s_and_b32 s37, s40, exec_lo
	s_delay_alu instid0(SALU_CYCLE_1)
	s_or_b32 s37, vcc_lo, s37
	s_and_not1_b32 exec_lo, exec_lo, s21
	s_cbranch_execz .LBB4_895
.LBB4_889:                              ;   Parent Loop BB4_55 Depth=1
                                        ;     Parent Loop BB4_824 Depth=2
                                        ; =>    This Inner Loop Header: Depth=3
	s_add_i32 s41, s41, 1
                                        ; implicit-def: $sgpr43
	s_delay_alu instid0(SALU_CYCLE_1) | instskip(SKIP_1) | instid1(SALU_CYCLE_1)
	s_cmpk_lg_i32 s41, 0x2710
	s_cselect_b32 s42, -1, 0
	s_and_b32 vcc_lo, exec_lo, s42
	s_cbranch_vccz .LBB4_893
.LBB4_890:                              ;   in Loop: Header=BB4_889 Depth=3
	s_and_not1_b32 s40, s40, exec_lo
	s_and_b32 s43, s43, exec_lo
	s_mov_b32 vcc_lo, -1
	s_or_b32 s40, s40, s43
	s_and_saveexec_b32 s43, s42
	s_cbranch_execz .LBB4_888
; %bb.891:                              ;   in Loop: Header=BB4_889 Depth=3
	s_sleep 1
	s_cbranch_execnz .LBB4_1747
; %bb.892:                              ;   in Loop: Header=BB4_889 Depth=3
	ds_load_b64 v[8:9], v0
	s_and_not1_b32 s40, s40, exec_lo
	s_waitcnt lgkmcnt(0)
	v_cmp_ge_u64_e32 vcc_lo, v[8:9], v[12:13]
	s_or_not1_b32 vcc_lo, vcc_lo, exec_lo
	s_branch .LBB4_888
.LBB4_893:                              ;   in Loop: Header=BB4_889 Depth=3
	s_cbranch_execnz .LBB4_1759
; %bb.894:                              ;   in Loop: Header=BB4_889 Depth=3
	ds_load_b64 v[8:9], v0
	s_and_not1_b32 s42, s42, exec_lo
	s_mov_b32 s41, 0
	s_mov_b32 s43, -1
	s_waitcnt lgkmcnt(0)
	s_waitcnt_vscnt null, 0x0
	flat_load_b32 v2, v[8:9] glc
	s_waitcnt vmcnt(0) lgkmcnt(0)
	buffer_gl1_inv
	buffer_gl0_inv
	v_cmp_eq_u32_e32 vcc_lo, 0, v2
	s_and_b32 vcc_lo, vcc_lo, exec_lo
	s_delay_alu instid0(SALU_CYCLE_1)
	s_or_b32 s42, s42, vcc_lo
	s_branch .LBB4_890
.LBB4_895:                              ;   in Loop: Header=BB4_824 Depth=2
	s_or_b32 exec_lo, exec_lo, s21
	s_and_saveexec_b32 s21, s37
	s_delay_alu instid0(SALU_CYCLE_1)
	s_xor_b32 s21, exec_lo, s21
	s_cbranch_execz .LBB4_897
; %bb.896:                              ;   in Loop: Header=BB4_824 Depth=2
	ds_store_b32 v0, v131
	s_cbranch_execnz .LBB4_1941
.LBB4_897:                              ;   in Loop: Header=BB4_824 Depth=2
	s_or_b32 exec_lo, exec_lo, s19
	;;#ASMSTART
	s_wakeup
	;;#ASMEND
.LBB4_898:                              ;   in Loop: Header=BB4_824 Depth=2
	s_or_b32 exec_lo, exec_lo, s17
.LBB4_899:                              ;   in Loop: Header=BB4_824 Depth=2
	s_and_not1_saveexec_b32 s3, s3
	s_cbranch_execz .LBB4_901
; %bb.900:                              ;   in Loop: Header=BB4_824 Depth=2
	;;#ASMSTART
	s_waitcnt lgkmcnt(0) vmcnt(0)
	;;#ASMEND
	s_waitcnt lgkmcnt(0)
	s_waitcnt_vscnt null, 0x0
	s_barrier
.LBB4_901:                              ;   in Loop: Header=BB4_824 Depth=2
	s_or_b32 exec_lo, exec_lo, s3
	v_and_b32_e32 v2, 16, v30
.LBB4_902:                              ;   in Loop: Header=BB4_824 Depth=2
	s_or_b32 exec_lo, exec_lo, s13
	s_delay_alu instid0(VALU_DEP_1) | instskip(SKIP_1) | instid1(SALU_CYCLE_1)
	v_cmp_ne_u32_e32 vcc_lo, 0, v2
	s_xor_b32 s3, s10, -1
	s_and_b32 s13, vcc_lo, s3
	s_delay_alu instid0(SALU_CYCLE_1)
	s_and_saveexec_b32 s3, s13
	s_cbranch_execz .LBB4_904
; %bb.903:                              ;   in Loop: Header=BB4_824 Depth=2
	s_waitcnt lgkmcnt(0)
	s_waitcnt_vscnt null, 0x0
	flat_store_b32 v[26:27], v131
.LBB4_904:                              ;   in Loop: Header=BB4_824 Depth=2
	s_or_b32 exec_lo, exec_lo, s3
	v_and_b32_e32 v2, 48, v30
	s_mov_b32 s3, exec_lo
	s_delay_alu instid0(VALU_DEP_1)
	v_cmpx_ne_u32_e32 0, v2
	s_cbranch_execz .LBB4_906
; %bb.905:                              ;   in Loop: Header=BB4_824 Depth=2
	v_add_co_u32 v22, vcc_lo, v22, 2
	v_add_co_ci_u32_e32 v23, vcc_lo, 0, v23, vcc_lo
	s_waitcnt lgkmcnt(0)
	s_waitcnt_vscnt null, 0x0
	flat_store_b64 v[20:21], v[22:23]
.LBB4_906:                              ;   in Loop: Header=BB4_824 Depth=2
	s_or_b32 exec_lo, exec_lo, s3
	v_add_nc_u32_e32 v52, v50, v52
	s_mov_b32 s13, 0
	s_and_not1_b32 exec_lo, exec_lo, s16
	s_cbranch_execnz .LBB4_824
; %bb.907:                              ;   in Loop: Header=BB4_55 Depth=1
	s_or_b32 exec_lo, exec_lo, s16
	s_mov_b32 s37, s15
.LBB4_908:                              ;   in Loop: Header=BB4_55 Depth=1
	v_writelane_b32 v42, s20, 7
	v_writelane_b32 v42, s30, 8
	;; [unrolled: 1-line block ×4, first 2 shown]
	s_or_b32 exec_lo, exec_lo, s12
	s_mov_b32 s3, s38
	s_mov_b32 s20, s14
	;; [unrolled: 1-line block ×4, first 2 shown]
	s_and_not1_b32 vcc_lo, exec_lo, s34
	v_writelane_b32 v42, s34, 11
	s_cbranch_vccnz .LBB4_1203
; %bb.909:                              ;   in Loop: Header=BB4_55 Depth=1
	s_mov_b32 s30, 1
.LBB4_910:                              ;   Parent Loop BB4_55 Depth=1
                                        ; =>  This Loop Header: Depth=2
                                        ;       Child Loop BB4_912 Depth 3
                                        ;         Child Loop BB4_921 Depth 4
                                        ;         Child Loop BB4_951 Depth 4
	;; [unrolled: 1-line block ×5, first 2 shown]
                                        ;           Child Loop BB4_1006 Depth 5
                                        ;         Child Loop BB4_1017 Depth 4
                                        ;         Child Loop BB4_1023 Depth 4
                                        ;           Child Loop BB4_1024 Depth 5
                                        ;         Child Loop BB4_1038 Depth 4
                                        ;         Child Loop BB4_1044 Depth 4
	;; [unrolled: 1-line block ×6, first 2 shown]
                                        ;       Child Loop BB4_1119 Depth 3
                                        ;         Child Loop BB4_1125 Depth 4
                                        ;         Child Loop BB4_1155 Depth 4
	;; [unrolled: 1-line block ×3, first 2 shown]
	s_delay_alu instid0(SALU_CYCLE_1) | instskip(SKIP_4) | instid1(SALU_CYCLE_1)
	s_sub_i32 s12, vcc_hi, s30
	v_mov_b32_e32 v52, 0
	s_cmp_le_i32 s25, s12
	s_mov_b32 s34, 0
	s_cselect_b32 s13, s25, 0
	s_sub_i32 s12, s12, s13
	s_delay_alu instid0(SALU_CYCLE_1) | instskip(SKIP_3) | instid1(VALU_DEP_1)
	s_ashr_i32 s13, s12, 31
	v_mul_lo_u32 v2, v37, s12
	v_mad_u64_u32 v[8:9], null, v36, s12, 0
	v_mul_lo_u32 v10, v36, s13
	v_add3_u32 v9, v9, v10, v2
	s_delay_alu instid0(VALU_DEP_3) | instskip(NEXT) | instid1(VALU_DEP_2)
	v_sub_co_u32 v10, vcc_lo, v38, v8
	v_sub_co_ci_u32_e32 v11, vcc_lo, v39, v9, vcc_lo
	s_delay_alu instid0(VALU_DEP_1) | instskip(SKIP_1) | instid1(VALU_DEP_1)
	v_cmp_lt_i64_e32 vcc_lo, v[36:37], v[10:11]
	v_cndmask_b32_e32 v10, v10, v36, vcc_lo
	v_max_i32_e32 v66, 0, v10
	s_delay_alu instid0(VALU_DEP_1) | instskip(NEXT) | instid1(VALU_DEP_1)
	v_add_nc_u32_e32 v2, 31, v66
	v_lshrrev_b32_e32 v2, 1, v2
	s_delay_alu instid0(VALU_DEP_1) | instskip(SKIP_2) | instid1(VALU_DEP_3)
	v_and_b32_e32 v11, 0x3ffffff0, v2
	v_cmp_lt_i32_e32 vcc_lo, 0, v10
	v_mov_b32_e32 v2, 0
	v_max_i32_e32 v50, s16, v11
	s_and_b32 s12, s22, vcc_lo
	s_delay_alu instid0(SALU_CYCLE_1)
	s_and_saveexec_b32 s31, s12
	s_cbranch_execz .LBB4_1117
; %bb.911:                              ;   in Loop: Header=BB4_910 Depth=2
	v_add_co_u32 v8, vcc_lo, v8, v48
	v_add_co_ci_u32_e32 v9, vcc_lo, v9, v49, vcc_lo
	v_mov_b32_e32 v52, 0
	s_mov_b32 s36, 1
	s_mov_b32 s35, -1
	s_delay_alu instid0(VALU_DEP_2)
	v_lshlrev_b64 v[54:55], 3, v[8:9]
.LBB4_912:                              ;   Parent Loop BB4_55 Depth=1
                                        ;     Parent Loop BB4_910 Depth=2
                                        ; =>    This Loop Header: Depth=3
                                        ;         Child Loop BB4_921 Depth 4
                                        ;         Child Loop BB4_951 Depth 4
	;; [unrolled: 1-line block ×5, first 2 shown]
                                        ;           Child Loop BB4_1006 Depth 5
                                        ;         Child Loop BB4_1017 Depth 4
                                        ;         Child Loop BB4_1023 Depth 4
                                        ;           Child Loop BB4_1024 Depth 5
                                        ;         Child Loop BB4_1038 Depth 4
                                        ;         Child Loop BB4_1044 Depth 4
                                        ;         Child Loop BB4_1054 Depth 4
                                        ;         Child Loop BB4_1060 Depth 4
                                        ;         Child Loop BB4_1072 Depth 4
                                        ;         Child Loop BB4_1098 Depth 4
	s_and_saveexec_b32 s12, s0
	s_cbranch_execz .LBB4_915
; %bb.913:                              ;   in Loop: Header=BB4_912 Depth=3
	s_cbranch_execnz .LBB4_1601
; %bb.914:                              ;   in Loop: Header=BB4_912 Depth=3
	ds_load_b128 v[8:11], v0
	v_ashrrev_i32_e32 v53, 31, v52
	s_delay_alu instid0(VALU_DEP_1)
	v_lshlrev_b64 v[64:65], 3, v[52:53]
	s_waitcnt lgkmcnt(0)
	v_add_co_u32 v2, vcc_lo, v10, v54
	v_add_co_ci_u32_e32 v51, vcc_lo, v11, v55, vcc_lo
	v_add_co_u32 v8, vcc_lo, v8, v54
	v_add_co_ci_u32_e32 v9, vcc_lo, v9, v55, vcc_lo
	s_delay_alu instid0(VALU_DEP_4) | instskip(NEXT) | instid1(VALU_DEP_4)
	v_add_co_u32 v2, vcc_lo, v2, v64
	v_add_co_ci_u32_e32 v51, vcc_lo, v51, v65, vcc_lo
	v_cmp_ne_u64_e32 vcc_lo, 0, v[10:11]
	v_add_co_u32 v8, s13, v8, v64
	s_delay_alu instid0(VALU_DEP_1) | instskip(NEXT) | instid1(VALU_DEP_4)
	v_add_co_ci_u32_e64 v9, s13, v9, v65, s13
	v_dual_cndmask_b32 v11, 0, v51 :: v_dual_cndmask_b32 v10, 0, v2
	ds_store_b64 v0, v[8:9]
	ds_store_b64 v0, v[10:11]
.LBB4_915:                              ;   in Loop: Header=BB4_912 Depth=3
	s_or_b32 exec_lo, exec_lo, s12
	v_and_b32_e32 v2, 12, v30
	s_mov_b32 s13, -1
	s_mov_b32 s12, exec_lo
	s_delay_alu instid0(VALU_DEP_1)
	v_cmpx_ne_u32_e32 0, v2
	s_cbranch_execz .LBB4_929
; %bb.916:                              ;   in Loop: Header=BB4_912 Depth=3
	v_and_b32_e32 v2, 8, v30
	s_delay_alu instid0(VALU_DEP_1) | instskip(SKIP_3) | instid1(VALU_DEP_1)
	v_add_co_u32 v10, vcc_lo, v28, v2
	v_add_co_ci_u32_e32 v11, vcc_lo, 0, v29, vcc_lo
	v_add_co_u32 v8, vcc_lo, v22, 2
	v_add_co_ci_u32_e32 v9, vcc_lo, 0, v23, vcc_lo
	v_cmp_lt_u64_e32 vcc_lo, v[10:11], v[8:9]
	v_mov_b32_e32 v10, 1
	s_and_saveexec_b32 s13, vcc_lo
	s_cbranch_execz .LBB4_928
; %bb.917:                              ;   in Loop: Header=BB4_912 Depth=3
	v_mov_b32_e32 v10, 0
	s_mov_b32 s14, 0
                                        ; implicit-def: $sgpr15
	s_branch .LBB4_921
.LBB4_918:                              ;   in Loop: Header=BB4_921 Depth=4
	s_or_b32 exec_lo, exec_lo, s38
	v_mov_b32_e32 v11, 0
	s_or_not1_b32 s37, s37, exec_lo
.LBB4_919:                              ;   in Loop: Header=BB4_921 Depth=4
	s_or_b32 exec_lo, exec_lo, s21
	s_delay_alu instid0(VALU_DEP_1) | instskip(SKIP_2) | instid1(SALU_CYCLE_1)
	v_mov_b32_e32 v10, v11
	s_and_not1_b32 s15, s15, exec_lo
	s_and_b32 s21, s37, exec_lo
	s_or_b32 s15, s15, s21
.LBB4_920:                              ;   in Loop: Header=BB4_921 Depth=4
	s_or_b32 exec_lo, exec_lo, s19
	s_waitcnt vmcnt(0) lgkmcnt(0)
	v_add_co_u32 v64, vcc_lo, v28, v2
	v_add_co_ci_u32_e32 v65, vcc_lo, 0, v29, vcc_lo
	s_xor_b32 s19, s15, -1
	s_delay_alu instid0(VALU_DEP_1) | instskip(SKIP_1) | instid1(SALU_CYCLE_1)
	v_cmp_ge_u64_e32 vcc_lo, v[64:65], v[8:9]
	s_or_b32 s19, s19, vcc_lo
	s_and_b32 s19, exec_lo, s19
	s_delay_alu instid0(SALU_CYCLE_1) | instskip(NEXT) | instid1(SALU_CYCLE_1)
	s_or_b32 s14, s19, s14
	s_and_not1_b32 exec_lo, exec_lo, s14
	s_cbranch_execz .LBB4_927
.LBB4_921:                              ;   Parent Loop BB4_55 Depth=1
                                        ;     Parent Loop BB4_910 Depth=2
                                        ;       Parent Loop BB4_912 Depth=3
                                        ; =>      This Inner Loop Header: Depth=4
	s_sleep 1
	flat_load_b64 v[28:29], v[20:21] glc
	v_and_b32_e32 v11, 64, v30
	s_and_not1_b32 s15, s15, exec_lo
	s_mov_b32 s19, exec_lo
	s_delay_alu instid0(VALU_DEP_1)
	v_cmpx_eq_u32_e32 0, v11
	s_cbranch_execz .LBB4_920
; %bb.922:                              ;   in Loop: Header=BB4_921 Depth=4
	v_add_nc_u32_e32 v11, 1, v10
	s_mov_b32 s37, -1
	s_mov_b32 s21, exec_lo
	v_cmpx_lt_i32_e32 0x270e, v10
	s_cbranch_execz .LBB4_919
; %bb.923:                              ;   in Loop: Header=BB4_921 Depth=4
	s_cbranch_execnz .LBB4_1639
; %bb.924:                              ;   in Loop: Header=BB4_921 Depth=4
	ds_load_b64 v[10:11], v0
	s_mov_b32 s38, exec_lo
	s_waitcnt vmcnt(0) lgkmcnt(0)
	s_waitcnt_vscnt null, 0x0
	flat_load_b32 v10, v[10:11] glc
	s_waitcnt vmcnt(0) lgkmcnt(0)
	buffer_gl1_inv
	buffer_gl0_inv
	v_cmpx_ne_u32_e32 0, v10
	s_cbranch_execz .LBB4_918
; %bb.925:                              ;   in Loop: Header=BB4_921 Depth=4
	ds_store_b32 v0, v10
	s_cbranch_execnz .LBB4_1721
; %bb.926:                              ;   in Loop: Header=BB4_921 Depth=4
	v_or_b32_e32 v30, 64, v30
	s_xor_b32 s37, exec_lo, -1
	s_branch .LBB4_918
.LBB4_927:                              ;   in Loop: Header=BB4_912 Depth=3
	s_or_b32 exec_lo, exec_lo, s14
	v_and_b32_e32 v10, 12, v30
.LBB4_928:                              ;   in Loop: Header=BB4_912 Depth=3
	s_or_b32 exec_lo, exec_lo, s13
	s_delay_alu instid0(VALU_DEP_1)
	v_cmp_eq_u32_e32 vcc_lo, 0, v10
	;;#ASMSTART
	s_wakeup
	;;#ASMEND
	s_or_not1_b32 s13, vcc_lo, exec_lo
.LBB4_929:                              ;   in Loop: Header=BB4_912 Depth=3
	s_or_b32 exec_lo, exec_lo, s12
	v_sub_nc_u32_e32 v2, v66, v52
	s_xor_b32 s13, s13, -1
	s_delay_alu instid0(VALU_DEP_1)
	v_min_i32_e32 v50, v50, v2
	s_and_saveexec_b32 s12, s13
	s_cbranch_execz .LBB4_942
; %bb.930:                              ;   in Loop: Header=BB4_912 Depth=3
	v_and_b32_e32 v2, 0x108, v30
	s_delay_alu instid0(VALU_DEP_1) | instskip(SKIP_2) | instid1(SALU_CYCLE_1)
	v_cmp_ne_u32_e32 vcc_lo, 0x108, v2
	v_and_b32_e32 v2, 7, v22
	s_and_saveexec_b32 s13, vcc_lo
	s_xor_b32 s13, exec_lo, s13
	s_delay_alu instid0(SALU_CYCLE_1)
	s_and_not1_saveexec_b32 s13, s13
	s_cbranch_execz .LBB4_932
; %bb.931:                              ;   in Loop: Header=BB4_912 Depth=3
	v_ashrrev_i32_e32 v51, 31, v50
	v_mad_u64_u32 v[8:9], null, v2, 24, v[6:7]
	s_delay_alu instid0(VALU_DEP_2)
	v_lshlrev_b64 v[10:11], 3, v[50:51]
	flat_store_b64 v[8:9], v[10:11] offset:8
.LBB4_932:                              ;   in Loop: Header=BB4_912 Depth=3
	s_or_b32 exec_lo, exec_lo, s13
	v_and_b32_e32 v8, 0x100, v30
	s_mov_b32 s13, -1
	s_delay_alu instid0(VALU_DEP_1)
	v_cmp_ne_u32_e32 vcc_lo, 0, v8
                                        ; implicit-def: $vgpr8_vgpr9
	s_and_saveexec_b32 s14, vcc_lo
	s_cbranch_execz .LBB4_937
; %bb.933:                              ;   in Loop: Header=BB4_912 Depth=3
	v_mad_u64_u32 v[10:11], null, v2, 24, v[6:7]
	s_delay_alu instid0(VALU_DEP_1) | instskip(NEXT) | instid1(VALU_DEP_1)
	v_mov_b32_e32 v8, v11
	v_mad_u64_u32 v[64:65], null, v3, 24, v[8:9]
	s_delay_alu instid0(VALU_DEP_1) | instskip(SKIP_4) | instid1(VALU_DEP_1)
	v_mov_b32_e32 v11, v64
	flat_load_b32 v8, v[10:11]
	s_waitcnt vmcnt(0) lgkmcnt(0)
	v_cmp_ne_u32_e32 vcc_lo, 1, v8
	v_cmp_eq_u32_e64 s13, 1, v8
                                        ; implicit-def: $vgpr8_vgpr9
	s_and_saveexec_b32 s15, s13
	s_cbranch_execz .LBB4_935
; %bb.934:                              ;   in Loop: Header=BB4_912 Depth=3
	flat_load_b32 v8, v[10:11] offset:4 glc
	s_waitcnt vmcnt(0) lgkmcnt(0)
	v_ashrrev_i32_e32 v9, 31, v8
	s_delay_alu instid0(VALU_DEP_1)
	v_lshrrev_b64 v[8:9], 3, v[8:9]
.LBB4_935:                              ;   in Loop: Header=BB4_912 Depth=3
	s_or_b32 exec_lo, exec_lo, s15
	s_delay_alu instid0(SALU_CYCLE_1)
	s_or_not1_b32 s13, vcc_lo, exec_lo
	s_or_b32 exec_lo, exec_lo, s14
	s_and_saveexec_b32 s14, s13
	s_cbranch_execnz .LBB4_938
.LBB4_936:                              ;   in Loop: Header=BB4_912 Depth=3
	s_or_b32 exec_lo, exec_lo, s14
	s_cbranch_execz .LBB4_939
	s_branch .LBB4_1629
.LBB4_937:                              ;   in Loop: Header=BB4_912 Depth=3
	s_or_b32 exec_lo, exec_lo, s14
	s_and_saveexec_b32 s14, s13
	s_cbranch_execz .LBB4_936
.LBB4_938:                              ;   in Loop: Header=BB4_912 Depth=3
	v_mul_lo_u32 v10, v3, v84
	v_mul_lo_u32 v11, v2, v85
	v_mad_u64_u32 v[8:9], null, v2, v84, 0
	s_delay_alu instid0(VALU_DEP_1)
	v_add3_u32 v9, v9, v11, v10
	s_or_b32 exec_lo, exec_lo, s14
	s_cbranch_execnz .LBB4_1629
.LBB4_939:                              ;   in Loop: Header=BB4_912 Depth=3
	s_delay_alu instid0(VALU_DEP_1) | instskip(SKIP_2) | instid1(VALU_DEP_2)
	v_lshlrev_b64 v[8:9], 3, v[8:9]
	v_and_b32_e32 v2, 0x2000, v30
	s_mov_b32 s13, exec_lo
	v_add_co_u32 v8, vcc_lo, v24, v8
	s_delay_alu instid0(VALU_DEP_3)
	v_add_co_ci_u32_e32 v9, vcc_lo, v25, v9, vcc_lo
	ds_store_b64 v0, v[8:9]
	v_cmpx_ne_u32_e32 0, v2
	s_cbranch_execz .LBB4_941
; %bb.940:                              ;   in Loop: Header=BB4_912 Depth=3
	ds_load_b64 v[8:9], v0 offset:584
	s_waitcnt lgkmcnt(0)
	v_add_co_u32 v8, vcc_lo, v8, 1
	v_add_co_ci_u32_e32 v9, vcc_lo, 0, v9, vcc_lo
	ds_store_b64 v0, v[8:9] offset:584
.LBB4_941:                              ;   in Loop: Header=BB4_912 Depth=3
	s_or_b32 exec_lo, exec_lo, s13
	v_add_co_u32 v22, vcc_lo, v22, 2
	v_add_co_ci_u32_e32 v23, vcc_lo, 0, v23, vcc_lo
.LBB4_942:                              ;   in Loop: Header=BB4_912 Depth=3
	s_or_b32 exec_lo, exec_lo, s12
	s_and_saveexec_b32 s12, s3
	s_cbranch_execz .LBB4_964
; %bb.943:                              ;   in Loop: Header=BB4_912 Depth=3
	s_and_saveexec_b32 s13, s4
	s_delay_alu instid0(SALU_CYCLE_1)
	s_xor_b32 s13, exec_lo, s13
	s_cbranch_execz .LBB4_961
; %bb.944:                              ;   in Loop: Header=BB4_912 Depth=3
	s_and_saveexec_b32 s14, s1
	s_cbranch_execz .LBB4_960
; %bb.945:                              ;   in Loop: Header=BB4_912 Depth=3
	s_mov_b32 s19, exec_lo
	s_mov_b32 s15, exec_lo
	v_mbcnt_lo_u32_b32 v2, s19, 0
	s_waitcnt lgkmcnt(0)
	s_waitcnt_vscnt null, 0x0
	buffer_gl1_inv
	buffer_gl0_inv
	v_cmpx_eq_u32_e32 0, v2
	s_cbranch_execz .LBB4_947
; %bb.946:                              ;   in Loop: Header=BB4_912 Depth=3
	s_bcnt1_i32_b32 s19, s19
	s_delay_alu instid0(SALU_CYCLE_1)
	v_mov_b32_e32 v2, s19
	ds_add_u64 v0, v[2:3]
	s_cbranch_execnz .LBB4_1777
.LBB4_947:                              ;   in Loop: Header=BB4_912 Depth=3
	s_or_b32 exec_lo, exec_lo, s15
	s_cbranch_execnz .LBB4_1749
; %bb.948:                              ;   in Loop: Header=BB4_912 Depth=3
	ds_load_b64 v[8:9], v0
	v_add_co_u32 v12, vcc_lo, v12, v86
	v_add_co_ci_u32_e32 v13, vcc_lo, 0, v13, vcc_lo
	s_mov_b32 s15, exec_lo
	s_waitcnt lgkmcnt(0)
	s_delay_alu instid0(VALU_DEP_1)
	v_cmpx_lt_u64_e64 v[8:9], v[12:13]
	s_cbranch_execz .LBB4_959
; %bb.949:                              ;   in Loop: Header=BB4_912 Depth=3
	s_mov_b32 s19, 0
	s_mov_b32 s38, 0
                                        ; implicit-def: $sgpr21
                                        ; implicit-def: $sgpr37
	s_branch .LBB4_951
.LBB4_950:                              ;   in Loop: Header=BB4_951 Depth=4
	s_or_b32 exec_lo, exec_lo, s41
	s_delay_alu instid0(SALU_CYCLE_1) | instskip(NEXT) | instid1(SALU_CYCLE_1)
	s_and_b32 vcc_lo, exec_lo, vcc_lo
	s_or_b32 s19, vcc_lo, s19
	s_and_not1_b32 s21, s21, exec_lo
	s_and_b32 vcc_lo, s37, exec_lo
	s_delay_alu instid0(SALU_CYCLE_1)
	s_or_b32 s21, s21, vcc_lo
	s_and_not1_b32 exec_lo, exec_lo, s19
	s_cbranch_execz .LBB4_957
.LBB4_951:                              ;   Parent Loop BB4_55 Depth=1
                                        ;     Parent Loop BB4_910 Depth=2
                                        ;       Parent Loop BB4_912 Depth=3
                                        ; =>      This Inner Loop Header: Depth=4
	s_add_i32 s38, s38, 1
                                        ; implicit-def: $sgpr41
	s_delay_alu instid0(SALU_CYCLE_1) | instskip(SKIP_1) | instid1(SALU_CYCLE_1)
	s_cmpk_lg_i32 s38, 0x2710
	s_cselect_b32 s40, -1, 0
	s_and_b32 vcc_lo, exec_lo, s40
	s_cbranch_vccz .LBB4_955
.LBB4_952:                              ;   in Loop: Header=BB4_951 Depth=4
	s_and_not1_b32 s37, s37, exec_lo
	s_and_b32 s41, s41, exec_lo
	s_mov_b32 vcc_lo, -1
	s_or_b32 s37, s37, s41
	s_and_saveexec_b32 s41, s40
	s_cbranch_execz .LBB4_950
; %bb.953:                              ;   in Loop: Header=BB4_951 Depth=4
	s_sleep 1
	s_cbranch_execnz .LBB4_1829
; %bb.954:                              ;   in Loop: Header=BB4_951 Depth=4
	ds_load_b64 v[8:9], v0
	s_and_not1_b32 s37, s37, exec_lo
	s_waitcnt lgkmcnt(0)
	v_cmp_ge_u64_e32 vcc_lo, v[8:9], v[12:13]
	s_or_not1_b32 vcc_lo, vcc_lo, exec_lo
	s_branch .LBB4_950
.LBB4_955:                              ;   in Loop: Header=BB4_951 Depth=4
	s_cbranch_execnz .LBB4_1847
; %bb.956:                              ;   in Loop: Header=BB4_951 Depth=4
	ds_load_b64 v[8:9], v0
	s_and_not1_b32 s40, s40, exec_lo
	s_mov_b32 s38, 0
	s_mov_b32 s41, -1
	s_waitcnt lgkmcnt(0)
	flat_load_b32 v2, v[8:9] glc
	s_waitcnt vmcnt(0) lgkmcnt(0)
	buffer_gl1_inv
	buffer_gl0_inv
	v_cmp_eq_u32_e32 vcc_lo, 0, v2
	s_and_b32 vcc_lo, vcc_lo, exec_lo
	s_delay_alu instid0(SALU_CYCLE_1)
	s_or_b32 s40, s40, vcc_lo
	s_branch .LBB4_952
.LBB4_957:                              ;   in Loop: Header=BB4_912 Depth=3
	s_or_b32 exec_lo, exec_lo, s19
	s_and_saveexec_b32 s19, s21
	s_delay_alu instid0(SALU_CYCLE_1)
	s_xor_b32 s19, exec_lo, s19
	s_cbranch_execz .LBB4_959
; %bb.958:                              ;   in Loop: Header=BB4_912 Depth=3
	ds_store_b32 v0, v131
	s_cbranch_execnz .LBB4_1961
.LBB4_959:                              ;   in Loop: Header=BB4_912 Depth=3
	s_or_b32 exec_lo, exec_lo, s15
	;;#ASMSTART
	s_wakeup
	;;#ASMEND
.LBB4_960:                              ;   in Loop: Header=BB4_912 Depth=3
	s_or_b32 exec_lo, exec_lo, s14
.LBB4_961:                              ;   in Loop: Header=BB4_912 Depth=3
	s_and_not1_saveexec_b32 s13, s13
	s_cbranch_execz .LBB4_963
; %bb.962:                              ;   in Loop: Header=BB4_912 Depth=3
	s_waitcnt lgkmcnt(0)
	s_waitcnt_vscnt null, 0x0
	buffer_gl1_inv
	buffer_gl0_inv
	s_barrier
.LBB4_963:                              ;   in Loop: Header=BB4_912 Depth=3
	s_or_b32 exec_lo, exec_lo, s13
.LBB4_964:                              ;   in Loop: Header=BB4_912 Depth=3
	s_delay_alu instid0(SALU_CYCLE_1)
	s_or_b32 exec_lo, exec_lo, s12
	s_cbranch_execnz .LBB4_1613
; %bb.965:                              ;   in Loop: Header=BB4_912 Depth=3
	ds_load_b32 v8, v0
	v_and_b32_e32 v2, 0x4000, v30
	s_xor_b32 s12, s2, -1
	s_delay_alu instid0(VALU_DEP_1) | instskip(SKIP_1) | instid1(SALU_CYCLE_1)
	v_cmp_ne_u32_e32 vcc_lo, 0, v2
	s_and_b32 s13, s12, vcc_lo
	s_and_saveexec_b32 s12, s13
	s_cbranch_execz .LBB4_987
; %bb.966:                              ;   in Loop: Header=BB4_912 Depth=3
	s_and_saveexec_b32 s13, s4
	s_delay_alu instid0(SALU_CYCLE_1)
	s_xor_b32 s13, exec_lo, s13
	s_cbranch_execz .LBB4_984
; %bb.967:                              ;   in Loop: Header=BB4_912 Depth=3
	s_and_saveexec_b32 s14, s1
	s_cbranch_execz .LBB4_983
; %bb.968:                              ;   in Loop: Header=BB4_912 Depth=3
	s_mov_b32 s19, exec_lo
	s_mov_b32 s15, exec_lo
	v_mbcnt_lo_u32_b32 v2, s19, 0
	s_waitcnt lgkmcnt(0)
	s_waitcnt_vscnt null, 0x0
	buffer_gl1_inv
	buffer_gl0_inv
	v_cmpx_eq_u32_e32 0, v2
	s_cbranch_execz .LBB4_970
; %bb.969:                              ;   in Loop: Header=BB4_912 Depth=3
	s_bcnt1_i32_b32 s19, s19
	s_delay_alu instid0(SALU_CYCLE_1)
	v_mov_b32_e32 v2, s19
	ds_add_u64 v0, v[2:3]
	s_cbranch_execnz .LBB4_1819
.LBB4_970:                              ;   in Loop: Header=BB4_912 Depth=3
	s_or_b32 exec_lo, exec_lo, s15
	s_cbranch_execnz .LBB4_1799
; %bb.971:                              ;   in Loop: Header=BB4_912 Depth=3
	ds_load_b64 v[9:10], v0
	v_add_co_u32 v12, vcc_lo, v12, v86
	v_add_co_ci_u32_e32 v13, vcc_lo, 0, v13, vcc_lo
	s_mov_b32 s15, exec_lo
	s_waitcnt lgkmcnt(0)
	s_delay_alu instid0(VALU_DEP_1)
	v_cmpx_lt_u64_e64 v[9:10], v[12:13]
	s_cbranch_execz .LBB4_982
; %bb.972:                              ;   in Loop: Header=BB4_912 Depth=3
	s_mov_b32 s19, 0
	s_mov_b32 s38, 0
                                        ; implicit-def: $sgpr21
                                        ; implicit-def: $sgpr37
	s_branch .LBB4_974
.LBB4_973:                              ;   in Loop: Header=BB4_974 Depth=4
	s_or_b32 exec_lo, exec_lo, s41
	s_delay_alu instid0(SALU_CYCLE_1) | instskip(NEXT) | instid1(SALU_CYCLE_1)
	s_and_b32 vcc_lo, exec_lo, vcc_lo
	s_or_b32 s19, vcc_lo, s19
	s_and_not1_b32 s21, s21, exec_lo
	s_and_b32 vcc_lo, s37, exec_lo
	s_delay_alu instid0(SALU_CYCLE_1)
	s_or_b32 s21, s21, vcc_lo
	s_and_not1_b32 exec_lo, exec_lo, s19
	s_cbranch_execz .LBB4_980
.LBB4_974:                              ;   Parent Loop BB4_55 Depth=1
                                        ;     Parent Loop BB4_910 Depth=2
                                        ;       Parent Loop BB4_912 Depth=3
                                        ; =>      This Inner Loop Header: Depth=4
	s_add_i32 s38, s38, 1
                                        ; implicit-def: $sgpr41
	s_delay_alu instid0(SALU_CYCLE_1) | instskip(SKIP_1) | instid1(SALU_CYCLE_1)
	s_cmpk_lg_i32 s38, 0x2710
	s_cselect_b32 s40, -1, 0
	s_and_b32 vcc_lo, exec_lo, s40
	s_cbranch_vccz .LBB4_978
.LBB4_975:                              ;   in Loop: Header=BB4_974 Depth=4
	s_and_not1_b32 s37, s37, exec_lo
	s_and_b32 s41, s41, exec_lo
	s_mov_b32 vcc_lo, -1
	s_or_b32 s37, s37, s41
	s_and_saveexec_b32 s41, s40
	s_cbranch_execz .LBB4_973
; %bb.976:                              ;   in Loop: Header=BB4_974 Depth=4
	s_sleep 1
	s_cbranch_execnz .LBB4_1883
; %bb.977:                              ;   in Loop: Header=BB4_974 Depth=4
	ds_load_b64 v[9:10], v0
	s_and_not1_b32 s37, s37, exec_lo
	s_waitcnt lgkmcnt(0)
	v_cmp_ge_u64_e32 vcc_lo, v[9:10], v[12:13]
	s_or_not1_b32 vcc_lo, vcc_lo, exec_lo
	s_branch .LBB4_973
.LBB4_978:                              ;   in Loop: Header=BB4_974 Depth=4
	s_cbranch_execnz .LBB4_1891
; %bb.979:                              ;   in Loop: Header=BB4_974 Depth=4
	ds_load_b64 v[9:10], v0
	s_and_not1_b32 s40, s40, exec_lo
	s_mov_b32 s38, 0
	s_mov_b32 s41, -1
	s_waitcnt lgkmcnt(0)
	flat_load_b32 v2, v[9:10] glc
	s_waitcnt vmcnt(0) lgkmcnt(0)
	buffer_gl1_inv
	buffer_gl0_inv
	v_cmp_eq_u32_e32 vcc_lo, 0, v2
	s_and_b32 vcc_lo, vcc_lo, exec_lo
	s_delay_alu instid0(SALU_CYCLE_1)
	s_or_b32 s40, s40, vcc_lo
	s_branch .LBB4_975
.LBB4_980:                              ;   in Loop: Header=BB4_912 Depth=3
	s_or_b32 exec_lo, exec_lo, s19
	s_and_saveexec_b32 s19, s21
	s_delay_alu instid0(SALU_CYCLE_1)
	s_xor_b32 s19, exec_lo, s19
	s_cbranch_execz .LBB4_982
; %bb.981:                              ;   in Loop: Header=BB4_912 Depth=3
	ds_store_b32 v0, v131
	s_cbranch_execnz .LBB4_1975
.LBB4_982:                              ;   in Loop: Header=BB4_912 Depth=3
	s_or_b32 exec_lo, exec_lo, s15
	;;#ASMSTART
	s_wakeup
	;;#ASMEND
.LBB4_983:                              ;   in Loop: Header=BB4_912 Depth=3
	s_or_b32 exec_lo, exec_lo, s14
.LBB4_984:                              ;   in Loop: Header=BB4_912 Depth=3
	s_and_not1_saveexec_b32 s13, s13
	s_cbranch_execz .LBB4_986
; %bb.985:                              ;   in Loop: Header=BB4_912 Depth=3
	s_waitcnt lgkmcnt(0)
	s_waitcnt_vscnt null, 0x0
	buffer_gl1_inv
	buffer_gl0_inv
	s_barrier
.LBB4_986:                              ;   in Loop: Header=BB4_912 Depth=3
	s_or_b32 exec_lo, exec_lo, s13
.LBB4_987:                              ;   in Loop: Header=BB4_912 Depth=3
	s_delay_alu instid0(SALU_CYCLE_1)
	s_or_b32 exec_lo, exec_lo, s12
	s_cbranch_execnz .LBB4_1669
; %bb.988:                              ;   in Loop: Header=BB4_912 Depth=3
	ds_load_b64 v[9:10], v0
	v_mov_b32_e32 v51, 0
	s_waitcnt lgkmcnt(0)
	v_cmp_eq_u64_e32 vcc_lo, 0, v[9:10]
	s_or_b32 s12, vcc_lo, vcc_lo
	s_delay_alu instid0(SALU_CYCLE_1)
	s_and_b32 vcc_lo, exec_lo, s12
	s_cbranch_vccnz .LBB4_1063
; %bb.989:                              ;   in Loop: Header=BB4_912 Depth=3
	v_cmp_eq_u32_e32 vcc_lo, 0, v8
	s_cbranch_execnz .LBB4_1743
; %bb.990:                              ;   in Loop: Header=BB4_912 Depth=3
	ds_load_b64 v[8:9], v0
	v_cndmask_b32_e32 v51, 0, v50, vcc_lo
	s_mov_b32 s12, -1
	s_delay_alu instid0(VALU_DEP_1)
	v_lshlrev_b32_e32 v2, 3, v51
	s_waitcnt lgkmcnt(0)
	v_cmp_ne_u64_e32 vcc_lo, 0, v[8:9]
	s_cbranch_vccz .LBB4_1028
; %bb.991:                              ;   in Loop: Header=BB4_912 Depth=3
	s_and_saveexec_b32 s13, s6
	s_cbranch_execz .LBB4_993
; %bb.992:                              ;   in Loop: Header=BB4_912 Depth=3
	ds_load_b32 v8, v0 offset:720
	s_waitcnt lgkmcnt(0)
	v_and_b32_e32 v8, 15, v8
	s_delay_alu instid0(VALU_DEP_1)
	v_cmp_eq_u32_e32 vcc_lo, 0, v8
	s_or_not1_b32 s12, vcc_lo, exec_lo
.LBB4_993:                              ;   in Loop: Header=BB4_912 Depth=3
	s_or_b32 exec_lo, exec_lo, s13
	s_delay_alu instid0(SALU_CYCLE_1) | instskip(SKIP_1) | instid1(VALU_DEP_1)
	s_mov_b32 s13, exec_lo
	v_readlane_b32 s14, v42, 0
	s_and_b32 s14, s13, s14
	s_delay_alu instid0(SALU_CYCLE_1)
	s_mov_b32 exec_lo, s14
	s_cbranch_execz .LBB4_995
; %bb.994:                              ;   in Loop: Header=BB4_912 Depth=3
	ds_load_b32 v8, v0 offset:784
	s_waitcnt lgkmcnt(0)
	v_and_b32_e32 v8, 15, v8
	s_delay_alu instid0(VALU_DEP_1) | instskip(SKIP_3) | instid1(SALU_CYCLE_1)
	v_cmp_eq_u32_e32 vcc_lo, 0, v8
	s_and_b32 s14, s12, vcc_lo
	s_and_not1_b32 s12, s12, exec_lo
	s_and_b32 s14, s14, exec_lo
	s_or_b32 s12, s12, s14
.LBB4_995:                              ;   in Loop: Header=BB4_912 Depth=3
	s_or_b32 exec_lo, exec_lo, s13
	s_xor_b32 s12, s12, -1
	v_mov_b32_e32 v53, 0
	v_cndmask_b32_e64 v8, 0, 1, s12
	;;#ASMSTART
	;;#ASMEND
	s_delay_alu instid0(VALU_DEP_1)
	v_cmp_ne_u32_e32 vcc_lo, 0, v8
	v_dual_mov_b32 v8, v87 :: v_dual_mov_b32 v67, v2
	v_mov_b32_e32 v69, v0
	s_mov_b32 s13, -1
	s_cbranch_vccnz .LBB4_1013
; %bb.996:                              ;   in Loop: Header=BB4_912 Depth=3
	v_ashrrev_i32_e32 v8, 31, v2
	s_mov_b32 s12, exec_lo
	s_delay_alu instid0(VALU_DEP_1) | instskip(NEXT) | instid1(VALU_DEP_1)
	v_lshrrev_b32_e32 v8, 22, v8
	v_add_nc_u32_e32 v8, v2, v8
	s_delay_alu instid0(VALU_DEP_1) | instskip(NEXT) | instid1(VALU_DEP_1)
	v_ashrrev_i32_e32 v53, 10, v8
	v_sub_nc_u32_e32 v70, v53, v87
	s_delay_alu instid0(VALU_DEP_1)
	v_cmpx_lt_i32_e32 0, v70
	s_cbranch_execz .LBB4_1001
; %bb.997:                              ;   in Loop: Header=BB4_912 Depth=3
	s_cbranch_execnz .LBB4_1905
; %bb.998:                              ;   in Loop: Header=BB4_912 Depth=3
	ds_load_b64 v[8:9], v0
	ds_load_b128 v[80:83], v0
	s_mov_b32 s14, 0
	s_waitcnt lgkmcnt(1)
	v_add_co_u32 v8, vcc_lo, v8, v119
	v_add_co_ci_u32_e32 v9, vcc_lo, v9, v128, vcc_lo
	s_waitcnt lgkmcnt(0)
	v_add_co_u32 v10, vcc_lo, v80, v119
	v_add_co_ci_u32_e32 v11, vcc_lo, v81, v128, vcc_lo
	v_add_co_u32 v64, vcc_lo, v82, v119
	v_add_co_ci_u32_e32 v65, vcc_lo, v83, v128, vcc_lo
.LBB4_999:                              ;   Parent Loop BB4_55 Depth=1
                                        ;     Parent Loop BB4_910 Depth=2
                                        ;       Parent Loop BB4_912 Depth=3
                                        ; =>      This Inner Loop Header: Depth=4
	s_clause 0x1
	global_load_b128 v[80:83], v[8:9], off slc dlc
	global_load_b128 v[132:135], v[8:9], off offset:512 slc dlc
	v_sub_nc_u32_e32 v70, v70, v86
	v_add_co_u32 v8, vcc_lo, v8, v129
	v_add_co_ci_u32_e32 v9, vcc_lo, v9, v130, vcc_lo
	s_delay_alu instid0(VALU_DEP_3)
	v_cmp_gt_i32_e32 vcc_lo, 1, v70
	s_waitcnt vmcnt(1)
	global_store_b128 v[10:11], v[80:83], off glc slc dlc
	s_waitcnt vmcnt(0)
	global_store_b128 v[10:11], v[132:135], off offset:512 glc slc dlc
	s_clause 0x1
	global_store_b128 v[64:65], v[80:83], off glc slc dlc
	global_store_b128 v[64:65], v[132:135], off offset:512 glc slc dlc
	v_add_co_u32 v10, s13, v10, v129
	s_delay_alu instid0(VALU_DEP_1) | instskip(SKIP_1) | instid1(VALU_DEP_1)
	v_add_co_ci_u32_e64 v11, s13, v11, v130, s13
	v_add_co_u32 v64, s13, v64, v129
	v_add_co_ci_u32_e64 v65, s13, v65, v130, s13
	s_or_b32 s14, vcc_lo, s14
	s_delay_alu instid0(SALU_CYCLE_1)
	s_and_not1_b32 exec_lo, exec_lo, s14
	s_cbranch_execnz .LBB4_999
; %bb.1000:                             ;   in Loop: Header=BB4_912 Depth=3
	s_or_b32 exec_lo, exec_lo, s14
.LBB4_1001:                             ;   in Loop: Header=BB4_912 Depth=3
	s_delay_alu instid0(SALU_CYCLE_1) | instskip(SKIP_3) | instid1(VALU_DEP_1)
	s_or_b32 exec_lo, exec_lo, s12
	v_dual_mov_b32 v53, 0 :: v_dual_lshlrev_b32 v68, 10, v53
	s_mov_b32 s13, 0
	s_mov_b32 s12, exec_lo
                                        ; implicit-def: $vgpr67
                                        ; implicit-def: $vgpr69
                                        ; implicit-def: $vgpr8
	v_cmpx_ne_u32_e64 v2, v68
	s_cbranch_execz .LBB4_1012
; %bb.1002:                             ;   in Loop: Header=BB4_912 Depth=3
	v_lshlrev_b32_e32 v8, 5, v70
	v_sub_nc_u32_e32 v10, v2, v68
	s_mov_b32 s19, exec_lo
	s_delay_alu instid0(VALU_DEP_2) | instskip(NEXT) | instid1(VALU_DEP_2)
	v_sub_nc_u32_e32 v8, v96, v8
	v_ashrrev_i32_e32 v11, 31, v10
	s_delay_alu instid0(VALU_DEP_2) | instskip(NEXT) | instid1(VALU_DEP_2)
	v_ashrrev_i32_e32 v9, 31, v8
	v_lshrrev_b32_e32 v11, 23, v11
	s_delay_alu instid0(VALU_DEP_2) | instskip(NEXT) | instid1(VALU_DEP_2)
	v_lshrrev_b32_e32 v9, 27, v9
	v_add_nc_u32_e32 v11, v10, v11
	s_delay_alu instid0(VALU_DEP_2) | instskip(NEXT) | instid1(VALU_DEP_2)
	v_add_nc_u32_e32 v9, v8, v9
	v_and_b32_e32 v70, 0xfffffe00, v11
	v_ashrrev_i32_e32 v11, 9, v11
	s_delay_alu instid0(VALU_DEP_3) | instskip(NEXT) | instid1(VALU_DEP_3)
	v_and_b32_e32 v53, 0xffffffe0, v9
	v_sub_nc_u32_e32 v81, v10, v70
	v_ashrrev_i32_e32 v9, 5, v9
	s_delay_alu instid0(VALU_DEP_3) | instskip(NEXT) | instid1(VALU_DEP_3)
	v_sub_nc_u32_e32 v80, v8, v53
	v_cmp_lt_i32_e64 s13, 15, v81
	s_delay_alu instid0(VALU_DEP_2) | instskip(NEXT) | instid1(VALU_DEP_2)
	v_lshlrev_b32_e32 v8, 4, v80
	v_add_co_ci_u32_e64 v11, vcc_lo, 0, v11, s13
	s_delay_alu instid0(VALU_DEP_2) | instskip(NEXT) | instid1(VALU_DEP_2)
	v_lshl_add_u32 v8, v9, 9, v8
	v_sub_nc_u32_e32 v82, v11, v9
	s_delay_alu instid0(VALU_DEP_2) | instskip(NEXT) | instid1(VALU_DEP_1)
	v_sub_nc_u32_e32 v53, v10, v8
	v_cmpx_lt_i32_e32 15, v53
	s_cbranch_execz .LBB4_1009
; %bb.1003:                             ;   in Loop: Header=BB4_912 Depth=3
	s_cbranch_execnz .LBB4_1943
; %bb.1004:                             ;   in Loop: Header=BB4_912 Depth=3
	ds_load_b64 v[9:10], v0
	ds_load_b128 v[132:135], v0
	v_add_nc_u32_e32 v8, v8, v68
	s_mov_b32 s21, 0
	s_delay_alu instid0(VALU_DEP_1) | instskip(SKIP_2) | instid1(VALU_DEP_2)
	v_ashrrev_i32_e32 v11, 31, v8
	s_waitcnt lgkmcnt(1)
	v_add_co_u32 v64, vcc_lo, v9, v8
	v_add_co_ci_u32_e32 v65, vcc_lo, v10, v11, vcc_lo
	s_waitcnt lgkmcnt(0)
	v_add_co_u32 v67, vcc_lo, v132, v8
	v_add_co_ci_u32_e32 v69, vcc_lo, v133, v11, vcc_lo
	v_add_co_u32 v83, vcc_lo, v134, v8
	v_add_co_ci_u32_e32 v132, vcc_lo, v135, v11, vcc_lo
.LBB4_1005:                             ;   Parent Loop BB4_55 Depth=1
                                        ;     Parent Loop BB4_910 Depth=2
                                        ;       Parent Loop BB4_912 Depth=3
                                        ; =>      This Loop Header: Depth=4
                                        ;           Child Loop BB4_1006 Depth 5
	global_load_b128 v[8:11], v[64:65], off slc dlc
	s_mov_b64 s[14:15], 0
	s_mov_b32 s37, -1
.LBB4_1006:                             ;   Parent Loop BB4_55 Depth=1
                                        ;     Parent Loop BB4_910 Depth=2
                                        ;       Parent Loop BB4_912 Depth=3
                                        ;         Parent Loop BB4_1005 Depth=4
                                        ; =>        This Inner Loop Header: Depth=5
	s_cmp_eq_u32 s14, 0
	v_cndmask_b32_e64 v135, 0, 1, s37
	s_cselect_b32 vcc_lo, -1, 0
	s_cmp_eq_u32 s14, 1
	s_mov_b32 s37, 0
	s_cselect_b32 s14, -1, 0
	s_delay_alu instid0(SALU_CYCLE_1) | instskip(SKIP_1) | instid1(VALU_DEP_2)
	v_cndmask_b32_e64 v133, v67, v83, s14
	v_cndmask_b32_e64 v134, v69, v132, s14
	v_add_co_u32 v144, s15, 0x200, v133
	s_delay_alu instid0(VALU_DEP_1) | instskip(SKIP_1) | instid1(VALU_DEP_3)
	v_add_co_ci_u32_e64 v145, s15, 0, v134, s15
	v_cmp_ne_u32_e64 s15, 1, v135
	v_cndmask_b32_e64 v83, v83, v144, s14
	v_cndmask_b32_e32 v67, v67, v144, vcc_lo
	s_delay_alu instid0(VALU_DEP_4)
	v_cndmask_b32_e64 v132, v132, v145, s14
	v_cndmask_b32_e32 v69, v69, v145, vcc_lo
	s_and_b32 vcc_lo, exec_lo, s15
	s_mov_b64 s[14:15], 1
	s_waitcnt vmcnt(0)
	global_store_b128 v[133:134], v[8:11], off glc slc dlc
	s_cbranch_vccz .LBB4_1006
; %bb.1007:                             ;   in Loop: Header=BB4_1005 Depth=4
	v_add_co_u32 v67, vcc_lo, v67, v100
	v_sub_nc_u32_e32 v53, v53, v98
	v_add_co_ci_u32_e32 v69, vcc_lo, v69, v112, vcc_lo
	v_add_co_u32 v83, vcc_lo, v83, v100
	v_add_co_ci_u32_e32 v132, vcc_lo, v132, v112, vcc_lo
	s_delay_alu instid0(VALU_DEP_4) | instskip(SKIP_1) | instid1(VALU_DEP_1)
	v_cmp_gt_i32_e32 vcc_lo, 16, v53
	v_add_co_u32 v64, s14, v114, v64
	v_add_co_ci_u32_e64 v65, s14, v115, v65, s14
	v_sub_nc_u32_e32 v82, v82, v86
	s_or_b32 s21, vcc_lo, s21
	s_delay_alu instid0(SALU_CYCLE_1)
	s_and_not1_b32 exec_lo, exec_lo, s21
	s_cbranch_execnz .LBB4_1005
; %bb.1008:                             ;   in Loop: Header=BB4_912 Depth=3
	s_or_b32 exec_lo, exec_lo, s21
.LBB4_1009:                             ;   in Loop: Header=BB4_912 Depth=3
	s_delay_alu instid0(SALU_CYCLE_1) | instskip(SKIP_4) | instid1(VALU_DEP_2)
	s_or_b32 exec_lo, exec_lo, s19
	v_and_b32_e32 v9, 8, v2
	v_mov_b32_e32 v53, 0
	s_mov_b32 s14, 0
	s_mov_b32 s15, exec_lo
                                        ; implicit-def: $vgpr69
                                        ; implicit-def: $vgpr8
	v_cndmask_b32_e64 v67, v81, v9, s13
	s_delay_alu instid0(VALU_DEP_1)
	v_cmpx_ne_u32_e32 0, v67
	s_cbranch_execz .LBB4_1011
; %bb.1010:                             ;   in Loop: Header=BB4_912 Depth=3
	v_cmp_lt_i32_e32 vcc_lo, 0, v82
	v_sub_nc_u32_e32 v9, v81, v9
	s_mov_b32 s14, exec_lo
	v_cndmask_b32_e32 v8, 0, v86, vcc_lo
	s_delay_alu instid0(VALU_DEP_2) | instskip(NEXT) | instid1(VALU_DEP_2)
	v_cndmask_b32_e64 v9, 0, v9, s13
	v_sub_nc_u32_e32 v8, v8, v82
	s_delay_alu instid0(VALU_DEP_2) | instskip(NEXT) | instid1(VALU_DEP_2)
	v_add3_u32 v53, v70, v68, v9
	v_lshl_add_u32 v69, v8, 5, v80
	s_delay_alu instid0(VALU_DEP_1) | instskip(NEXT) | instid1(VALU_DEP_1)
	v_ashrrev_i32_e32 v8, 31, v69
	v_lshrrev_b32_e32 v8, 27, v8
	s_delay_alu instid0(VALU_DEP_1) | instskip(NEXT) | instid1(VALU_DEP_1)
	v_add_nc_u32_e32 v8, v69, v8
	v_ashrrev_i32_e32 v8, 5, v8
.LBB4_1011:                             ;   in Loop: Header=BB4_912 Depth=3
	s_or_b32 exec_lo, exec_lo, s15
	s_delay_alu instid0(SALU_CYCLE_1)
	s_and_b32 s13, s14, exec_lo
.LBB4_1012:                             ;   in Loop: Header=BB4_912 Depth=3
	s_or_b32 exec_lo, exec_lo, s12
.LBB4_1013:                             ;   in Loop: Header=BB4_912 Depth=3
	s_and_saveexec_b32 s12, s13
	s_cbranch_execz .LBB4_1027
; %bb.1014:                             ;   in Loop: Header=BB4_912 Depth=3
	v_ashrrev_i32_e32 v9, 31, v67
	s_mov_b32 s14, exec_lo
	s_delay_alu instid0(VALU_DEP_1) | instskip(NEXT) | instid1(VALU_DEP_1)
	v_lshrrev_b32_e32 v9, 23, v9
	v_add_nc_u32_e32 v9, v67, v9
	s_delay_alu instid0(VALU_DEP_1) | instskip(NEXT) | instid1(VALU_DEP_1)
	v_ashrrev_i32_e32 v70, 9, v9
	v_sub_nc_u32_e32 v68, v70, v8
	s_delay_alu instid0(VALU_DEP_1)
	v_cmpx_lt_i32_e32 0, v68
	s_cbranch_execz .LBB4_1019
; %bb.1015:                             ;   in Loop: Header=BB4_912 Depth=3
	s_cbranch_execnz .LBB4_1901
; %bb.1016:                             ;   in Loop: Header=BB4_912 Depth=3
	v_ashrrev_i32_e32 v9, 31, v69
	v_lshlrev_b32_e32 v8, 9, v8
	s_mov_b32 s15, 0
	ds_load_b128 v[80:83], v0
	v_lshrrev_b32_e32 v9, 27, v9
	s_delay_alu instid0(VALU_DEP_1) | instskip(NEXT) | instid1(VALU_DEP_1)
	v_add_nc_u32_e32 v9, v69, v9
	v_and_b32_e32 v11, 0x1fffffe0, v9
	ds_load_b64 v[9:10], v0
	v_sub_nc_u32_e32 v11, v69, v11
	s_delay_alu instid0(VALU_DEP_1) | instskip(NEXT) | instid1(VALU_DEP_1)
	v_lshlrev_b32_e32 v11, 3, v11
	v_add3_u32 v64, v11, v53, v8
	s_delay_alu instid0(VALU_DEP_1) | instskip(SKIP_2) | instid1(VALU_DEP_2)
	v_ashrrev_i32_e32 v65, 31, v64
	s_waitcnt lgkmcnt(0)
	v_add_co_u32 v8, vcc_lo, v9, v64
	v_add_co_ci_u32_e32 v9, vcc_lo, v10, v65, vcc_lo
	v_add_co_u32 v10, vcc_lo, v80, v64
	v_add_co_ci_u32_e32 v11, vcc_lo, v81, v65, vcc_lo
	;; [unrolled: 2-line block ×3, first 2 shown]
.LBB4_1017:                             ;   Parent Loop BB4_55 Depth=1
                                        ;     Parent Loop BB4_910 Depth=2
                                        ;       Parent Loop BB4_912 Depth=3
                                        ; =>      This Inner Loop Header: Depth=4
	s_clause 0x1
	flat_load_b64 v[80:81], v[8:9] slc dlc
	flat_load_b64 v[82:83], v[8:9] offset:256 slc dlc
	v_sub_nc_u32_e32 v68, v68, v86
	v_add_co_u32 v8, vcc_lo, v8, v114
	v_add_co_ci_u32_e32 v9, vcc_lo, v9, v115, vcc_lo
	s_delay_alu instid0(VALU_DEP_3)
	v_cmp_gt_i32_e32 vcc_lo, 1, v68
	s_waitcnt vmcnt(1) lgkmcnt(1)
	flat_store_b64 v[10:11], v[80:81] glc slc dlc
	s_waitcnt vmcnt(0) lgkmcnt(1)
	flat_store_b64 v[10:11], v[82:83] offset:256 glc slc dlc
	s_clause 0x1
	flat_store_b64 v[64:65], v[80:81] glc slc dlc
	flat_store_b64 v[64:65], v[82:83] offset:256 glc slc dlc
	v_add_co_u32 v10, s13, v10, v114
	s_delay_alu instid0(VALU_DEP_1) | instskip(SKIP_1) | instid1(VALU_DEP_1)
	v_add_co_ci_u32_e64 v11, s13, v11, v115, s13
	v_add_co_u32 v64, s13, v64, v114
	v_add_co_ci_u32_e64 v65, s13, v65, v115, s13
	s_or_b32 s15, vcc_lo, s15
	s_delay_alu instid0(SALU_CYCLE_1)
	s_and_not1_b32 exec_lo, exec_lo, s15
	s_cbranch_execnz .LBB4_1017
; %bb.1018:                             ;   in Loop: Header=BB4_912 Depth=3
	s_or_b32 exec_lo, exec_lo, s15
.LBB4_1019:                             ;   in Loop: Header=BB4_912 Depth=3
	s_delay_alu instid0(SALU_CYCLE_1) | instskip(SKIP_2) | instid1(VALU_DEP_1)
	s_or_b32 exec_lo, exec_lo, s14
	v_lshlrev_b32_e32 v8, 9, v70
	s_mov_b32 s19, exec_lo
	v_cmpx_ne_u32_e64 v67, v8
	s_cbranch_execz .LBB4_1026
; %bb.1020:                             ;   in Loop: Header=BB4_912 Depth=3
	v_ashrrev_i32_e32 v9, 31, v69
	v_lshlrev_b32_e32 v10, 5, v68
	s_delay_alu instid0(VALU_DEP_2) | instskip(NEXT) | instid1(VALU_DEP_1)
	v_lshrrev_b32_e32 v9, 27, v9
	v_add_nc_u32_e32 v9, v69, v9
	s_delay_alu instid0(VALU_DEP_1) | instskip(NEXT) | instid1(VALU_DEP_1)
	v_and_b32_e32 v9, 0xffffffe0, v9
	v_sub_nc_u32_e32 v9, v69, v9
	s_delay_alu instid0(VALU_DEP_1) | instskip(NEXT) | instid1(VALU_DEP_1)
	v_sub_nc_u32_e32 v9, v9, v10
	v_ashrrev_i32_e32 v10, 31, v9
	s_delay_alu instid0(VALU_DEP_1) | instskip(NEXT) | instid1(VALU_DEP_1)
	v_lshrrev_b32_e32 v10, 27, v10
	v_add_nc_u32_e32 v10, v9, v10
	s_delay_alu instid0(VALU_DEP_1) | instskip(SKIP_1) | instid1(VALU_DEP_2)
	v_and_b32_e32 v11, 0x1fffffe0, v10
	v_lshlrev_b32_e32 v10, 3, v10
	v_sub_nc_u32_e32 v9, v9, v11
	s_delay_alu instid0(VALU_DEP_2) | instskip(NEXT) | instid1(VALU_DEP_2)
	v_and_b32_e32 v10, 0xffffff00, v10
	v_lshlrev_b32_e32 v9, 3, v9
	s_delay_alu instid0(VALU_DEP_1) | instskip(NEXT) | instid1(VALU_DEP_1)
	v_add3_u32 v8, v10, v9, v8
	v_sub_nc_u32_e32 v64, v67, v8
	s_delay_alu instid0(VALU_DEP_1)
	v_cmp_lt_i32_e32 vcc_lo, 7, v64
	s_and_b32 exec_lo, exec_lo, vcc_lo
	s_cbranch_execz .LBB4_1026
; %bb.1021:                             ;   in Loop: Header=BB4_912 Depth=3
	s_cbranch_execnz .LBB4_1937
; %bb.1022:                             ;   in Loop: Header=BB4_912 Depth=3
	ds_load_b64 v[9:10], v0
	ds_load_b128 v[67:70], v0
	v_add_nc_u32_e32 v11, v8, v53
	s_mov_b32 s21, 0
	s_delay_alu instid0(VALU_DEP_1) | instskip(SKIP_2) | instid1(VALU_DEP_2)
	v_ashrrev_i32_e32 v80, 31, v11
	s_waitcnt lgkmcnt(1)
	v_add_co_u32 v8, vcc_lo, v9, v11
	v_add_co_ci_u32_e32 v9, vcc_lo, v10, v80, vcc_lo
	s_waitcnt lgkmcnt(0)
	v_add_co_u32 v53, vcc_lo, v67, v11
	v_add_co_ci_u32_e32 v65, vcc_lo, v68, v80, vcc_lo
	v_add_co_u32 v67, vcc_lo, v69, v11
	v_add_co_ci_u32_e32 v68, vcc_lo, v70, v80, vcc_lo
	s_set_inst_prefetch_distance 0x1
.LBB4_1023:                             ;   Parent Loop BB4_55 Depth=1
                                        ;     Parent Loop BB4_910 Depth=2
                                        ;       Parent Loop BB4_912 Depth=3
                                        ; =>      This Loop Header: Depth=4
                                        ;           Child Loop BB4_1024 Depth 5
	flat_load_b64 v[10:11], v[8:9] slc dlc
	s_mov_b64 s[14:15], 0
	s_mov_b32 s13, -1
.LBB4_1024:                             ;   Parent Loop BB4_55 Depth=1
                                        ;     Parent Loop BB4_910 Depth=2
                                        ;       Parent Loop BB4_912 Depth=3
                                        ;         Parent Loop BB4_1023 Depth=4
                                        ; =>        This Inner Loop Header: Depth=5
	s_cmp_eq_u32 s14, 0
	v_cndmask_b32_e64 v80, 0, 1, s13
	s_cselect_b32 vcc_lo, -1, 0
	s_cmp_eq_u32 s14, 1
	s_cselect_b32 s13, -1, 0
	s_delay_alu instid0(SALU_CYCLE_1) | instskip(SKIP_1) | instid1(VALU_DEP_2)
	v_cndmask_b32_e64 v69, v53, v67, s13
	v_cndmask_b32_e64 v70, v65, v68, s13
	v_add_co_u32 v81, s14, 0x100, v69
	s_delay_alu instid0(VALU_DEP_1) | instskip(SKIP_1) | instid1(VALU_DEP_3)
	v_add_co_ci_u32_e64 v82, s14, 0, v70, s14
	v_cmp_ne_u32_e64 s14, 1, v80
	v_cndmask_b32_e64 v67, v67, v81, s13
	v_cndmask_b32_e32 v53, v53, v81, vcc_lo
	s_delay_alu instid0(VALU_DEP_4)
	v_cndmask_b32_e64 v68, v68, v82, s13
	v_cndmask_b32_e32 v65, v65, v82, vcc_lo
	s_mov_b32 s13, 0
	s_and_b32 vcc_lo, exec_lo, s14
	s_mov_b64 s[14:15], 1
	s_waitcnt vmcnt(0) lgkmcnt(0)
	flat_store_b64 v[69:70], v[10:11] glc slc dlc
	s_cbranch_vccz .LBB4_1024
; %bb.1025:                             ;   in Loop: Header=BB4_1023 Depth=4
	v_add_co_u32 v53, vcc_lo, v53, v113
	v_sub_nc_u32_e32 v64, v64, v101
	v_add_co_ci_u32_e32 v65, vcc_lo, v65, v116, vcc_lo
	v_add_co_u32 v67, vcc_lo, v67, v113
	v_add_co_ci_u32_e32 v68, vcc_lo, v68, v116, vcc_lo
	s_delay_alu instid0(VALU_DEP_4) | instskip(SKIP_1) | instid1(VALU_DEP_1)
	v_cmp_gt_i32_e32 vcc_lo, 8, v64
	v_add_co_u32 v8, s13, v117, v8
	v_add_co_ci_u32_e64 v9, s13, v118, v9, s13
	s_or_b32 s21, vcc_lo, s21
	s_delay_alu instid0(SALU_CYCLE_1)
	s_and_not1_b32 exec_lo, exec_lo, s21
	s_cbranch_execnz .LBB4_1023
.LBB4_1026:                             ;   in Loop: Header=BB4_912 Depth=3
	s_set_inst_prefetch_distance 0x2
	s_or_b32 exec_lo, exec_lo, s19
.LBB4_1027:                             ;   in Loop: Header=BB4_912 Depth=3
	s_delay_alu instid0(SALU_CYCLE_1)
	s_or_b32 exec_lo, exec_lo, s12
	s_mov_b32 s12, 0
.LBB4_1028:                             ;   in Loop: Header=BB4_912 Depth=3
	s_delay_alu instid0(SALU_CYCLE_1)
	s_and_b32 vcc_lo, exec_lo, s12
	s_cbranch_vccz .LBB4_1063
; %bb.1029:                             ;   in Loop: Header=BB4_912 Depth=3
	s_mov_b32 s12, -1
	s_and_saveexec_b32 s13, s6
	s_cbranch_execz .LBB4_1031
; %bb.1030:                             ;   in Loop: Header=BB4_912 Depth=3
	ds_load_b32 v8, v0 offset:720
	s_waitcnt lgkmcnt(0)
	v_and_b32_e32 v8, 15, v8
	s_delay_alu instid0(VALU_DEP_1)
	v_cmp_eq_u32_e32 vcc_lo, 0, v8
	s_or_not1_b32 s12, vcc_lo, exec_lo
.LBB4_1031:                             ;   in Loop: Header=BB4_912 Depth=3
	s_or_b32 exec_lo, exec_lo, s13
	s_and_saveexec_b32 s13, s5
	s_cbranch_execz .LBB4_1033
; %bb.1032:                             ;   in Loop: Header=BB4_912 Depth=3
	ds_load_b32 v8, v0 offset:784
	s_waitcnt lgkmcnt(0)
	v_and_b32_e32 v8, 15, v8
	s_delay_alu instid0(VALU_DEP_1) | instskip(SKIP_3) | instid1(SALU_CYCLE_1)
	v_cmp_eq_u32_e32 vcc_lo, 0, v8
	s_and_b32 s14, s12, vcc_lo
	s_and_not1_b32 s12, s12, exec_lo
	s_and_b32 s14, s14, exec_lo
	s_or_b32 s12, s12, s14
.LBB4_1033:                             ;   in Loop: Header=BB4_912 Depth=3
	s_or_b32 exec_lo, exec_lo, s13
	s_xor_b32 s12, s12, -1
	v_mov_b32_e32 v10, 0
	v_cndmask_b32_e64 v8, 0, 1, s12
	;;#ASMSTART
	;;#ASMEND
	s_delay_alu instid0(VALU_DEP_1)
	v_cmp_ne_u32_e32 vcc_lo, 0, v8
	s_mov_b32 s13, -1
	s_cbranch_vccz .LBB4_1035
; %bb.1034:                             ;   in Loop: Header=BB4_912 Depth=3
	v_dual_mov_b32 v11, v0 :: v_dual_mov_b32 v68, v87
	s_branch .LBB4_1050
.LBB4_1035:                             ;   in Loop: Header=BB4_912 Depth=3
	v_ashrrev_i32_e32 v8, 31, v2
	s_mov_b32 s12, exec_lo
	s_delay_alu instid0(VALU_DEP_1) | instskip(NEXT) | instid1(VALU_DEP_1)
	v_lshrrev_b32_e32 v8, 21, v8
	v_add_nc_u32_e32 v8, v2, v8
	s_delay_alu instid0(VALU_DEP_1) | instskip(NEXT) | instid1(VALU_DEP_1)
	v_ashrrev_i32_e32 v53, 11, v8
	v_sub_nc_u32_e32 v64, v53, v87
	s_delay_alu instid0(VALU_DEP_1)
	v_cmpx_lt_i32_e32 0, v64
	s_cbranch_execz .LBB4_1040
; %bb.1036:                             ;   in Loop: Header=BB4_912 Depth=3
	s_cbranch_execnz .LBB4_1921
; %bb.1037:                             ;   in Loop: Header=BB4_912 Depth=3
	ds_load_b64 v[8:9], v0
	s_mov_b32 s14, 0
	s_waitcnt lgkmcnt(0)
	v_dual_mov_b32 v11, v9 :: v_dual_mov_b32 v10, v8
	s_set_inst_prefetch_distance 0x1
.LBB4_1038:                             ;   Parent Loop BB4_55 Depth=1
                                        ;     Parent Loop BB4_910 Depth=2
                                        ;       Parent Loop BB4_912 Depth=3
                                        ; =>      This Inner Loop Header: Depth=4
	s_delay_alu instid0(VALU_DEP_1) | instskip(NEXT) | instid1(VALU_DEP_2)
	v_add_co_u32 v144, vcc_lo, v97, v10
	v_add_co_ci_u32_e32 v145, vcc_lo, v99, v11, vcc_lo
	v_add_co_u32 v148, vcc_lo, v97, v8
	v_sub_nc_u32_e32 v64, v64, v86
	s_clause 0x3
	global_load_b128 v[67:70], v[144:145], off slc dlc
	global_load_b128 v[80:83], v[144:145], off offset:512 slc dlc
	global_load_b128 v[132:135], v[144:145], off offset:1024 slc dlc
	;; [unrolled: 1-line block ×3, first 2 shown]
	v_add_co_ci_u32_e32 v149, vcc_lo, v99, v9, vcc_lo
	v_add_co_u32 v10, vcc_lo, v10, v102
	v_add_co_ci_u32_e32 v11, vcc_lo, v11, v103, vcc_lo
	v_add_co_u32 v8, vcc_lo, v8, v102
	v_cmp_gt_i32_e64 s13, 1, v64
	v_add_co_ci_u32_e32 v9, vcc_lo, v9, v103, vcc_lo
	s_waitcnt vmcnt(3)
	global_store_b128 v[148:149], v[67:70], off glc slc dlc
	s_waitcnt vmcnt(2)
	global_store_b128 v[148:149], v[80:83], off offset:512 glc slc dlc
	s_waitcnt vmcnt(1)
	global_store_b128 v[148:149], v[132:135], off offset:1024 glc slc dlc
	;; [unrolled: 2-line block ×3, first 2 shown]
	s_or_b32 s14, s13, s14
	s_delay_alu instid0(SALU_CYCLE_1)
	s_and_not1_b32 exec_lo, exec_lo, s14
	s_cbranch_execnz .LBB4_1038
; %bb.1039:                             ;   in Loop: Header=BB4_912 Depth=3
	s_set_inst_prefetch_distance 0x2
	s_or_b32 exec_lo, exec_lo, s14
.LBB4_1040:                             ;   in Loop: Header=BB4_912 Depth=3
	s_delay_alu instid0(SALU_CYCLE_1) | instskip(SKIP_3) | instid1(VALU_DEP_1)
	s_or_b32 exec_lo, exec_lo, s12
	v_dual_mov_b32 v10, 0 :: v_dual_lshlrev_b32 v53, 11, v53
	s_mov_b32 s13, 0
	s_mov_b32 s12, exec_lo
                                        ; implicit-def: $vgpr11
                                        ; implicit-def: $vgpr68
	v_cmpx_ne_u32_e64 v2, v53
	s_cbranch_execz .LBB4_1049
; %bb.1041:                             ;   in Loop: Header=BB4_912 Depth=3
	v_lshlrev_b32_e32 v8, 5, v64
	v_sub_nc_u32_e32 v10, v2, v53
	s_mov_b32 s15, exec_lo
	s_delay_alu instid0(VALU_DEP_2) | instskip(NEXT) | instid1(VALU_DEP_2)
	v_sub_nc_u32_e32 v8, v96, v8
	v_ashrrev_i32_e32 v11, 31, v10
	s_delay_alu instid0(VALU_DEP_2) | instskip(NEXT) | instid1(VALU_DEP_2)
	v_ashrrev_i32_e32 v9, 31, v8
	v_lshrrev_b32_e32 v11, 23, v11
	s_delay_alu instid0(VALU_DEP_2) | instskip(NEXT) | instid1(VALU_DEP_2)
	v_lshrrev_b32_e32 v9, 27, v9
	v_add_nc_u32_e32 v11, v10, v11
	s_delay_alu instid0(VALU_DEP_2) | instskip(NEXT) | instid1(VALU_DEP_2)
	v_add_nc_u32_e32 v9, v8, v9
	v_ashrrev_i32_e32 v68, 9, v11
	s_delay_alu instid0(VALU_DEP_2) | instskip(NEXT) | instid1(VALU_DEP_1)
	v_and_b32_e32 v64, 0xffffffe0, v9
	v_sub_nc_u32_e32 v65, v8, v64
	v_and_b32_e32 v64, 0xfffffe00, v11
	v_ashrrev_i32_e32 v8, 5, v9
	s_delay_alu instid0(VALU_DEP_3) | instskip(NEXT) | instid1(VALU_DEP_3)
	v_lshlrev_b32_e32 v9, 4, v65
	v_sub_nc_u32_e32 v67, v10, v64
	s_delay_alu instid0(VALU_DEP_2) | instskip(NEXT) | instid1(VALU_DEP_2)
	v_lshl_add_u32 v11, v8, 9, v9
	v_cmp_lt_i32_e32 vcc_lo, 15, v67
	s_delay_alu instid0(VALU_DEP_2) | instskip(SKIP_1) | instid1(VALU_DEP_1)
	v_sub_nc_u32_e32 v10, v10, v11
	v_add_co_ci_u32_e64 v9, s13, 0, v68, vcc_lo
	v_sub_nc_u32_e32 v69, v9, v8
	s_delay_alu instid0(VALU_DEP_3)
	v_cmpx_lt_i32_e32 15, v10
	s_cbranch_execz .LBB4_1046
; %bb.1042:                             ;   in Loop: Header=BB4_912 Depth=3
	s_cbranch_execnz .LBB4_1951
; %bb.1043:                             ;   in Loop: Header=BB4_912 Depth=3
	ds_load_b64 v[8:9], v0
	v_add_nc_u32_e32 v11, v11, v53
	s_mov_b32 s19, 0
	s_delay_alu instid0(VALU_DEP_1)
	v_ashrrev_i32_e32 v68, 31, v11
.LBB4_1044:                             ;   Parent Loop BB4_55 Depth=1
                                        ;     Parent Loop BB4_910 Depth=2
                                        ;       Parent Loop BB4_912 Depth=3
                                        ; =>      This Inner Loop Header: Depth=4
	s_waitcnt lgkmcnt(0)
	v_add_co_u32 v132, s13, v8, v11
	s_delay_alu instid0(VALU_DEP_1)
	v_add_co_ci_u32_e64 v133, s13, v9, v68, s13
	v_sub_nc_u32_e32 v10, v10, v98
	v_add_co_u32 v11, s14, v11, v114
	global_load_b128 v[80:83], v[132:133], off slc dlc
	v_sub_nc_u32_e32 v69, v69, v86
	v_cmp_gt_i32_e64 s13, 16, v10
	v_add_co_ci_u32_e64 v68, s14, v68, v115, s14
	s_delay_alu instid0(VALU_DEP_2)
	s_or_b32 s19, s13, s19
	s_waitcnt vmcnt(0)
	global_store_b128 v[132:133], v[80:83], off glc slc dlc
	s_and_not1_b32 exec_lo, exec_lo, s19
	s_cbranch_execnz .LBB4_1044
; %bb.1045:                             ;   in Loop: Header=BB4_912 Depth=3
	s_or_b32 exec_lo, exec_lo, s19
.LBB4_1046:                             ;   in Loop: Header=BB4_912 Depth=3
	s_delay_alu instid0(SALU_CYCLE_1) | instskip(SKIP_4) | instid1(VALU_DEP_2)
	s_or_b32 exec_lo, exec_lo, s15
	v_and_b32_e32 v8, 8, v2
	v_mov_b32_e32 v10, 0
	s_mov_b32 s14, 0
	s_mov_b32 s15, exec_lo
                                        ; implicit-def: $vgpr11
                                        ; implicit-def: $vgpr68
	v_cndmask_b32_e32 v2, v67, v8, vcc_lo
	s_delay_alu instid0(VALU_DEP_1)
	v_cmpx_ne_u32_e32 0, v2
; %bb.1047:                             ;   in Loop: Header=BB4_912 Depth=3
	v_cmp_lt_i32_e64 s13, 0, v69
	v_sub_nc_u32_e32 v8, v67, v8
	s_mov_b32 s14, exec_lo
	s_delay_alu instid0(VALU_DEP_2) | instskip(NEXT) | instid1(VALU_DEP_1)
	v_cndmask_b32_e64 v9, 0, v86, s13
	v_sub_nc_u32_e32 v9, v9, v69
	s_delay_alu instid0(VALU_DEP_1) | instskip(NEXT) | instid1(VALU_DEP_1)
	v_lshl_add_u32 v11, v9, 5, v65
	v_ashrrev_i32_e32 v9, 31, v11
	s_delay_alu instid0(VALU_DEP_1) | instskip(NEXT) | instid1(VALU_DEP_1)
	v_lshrrev_b32_e32 v9, 27, v9
	v_dual_cndmask_b32 v8, 0, v8 :: v_dual_add_nc_u32 v9, v11, v9
	s_delay_alu instid0(VALU_DEP_1) | instskip(NEXT) | instid1(VALU_DEP_2)
	v_add3_u32 v10, v64, v53, v8
	v_ashrrev_i32_e32 v68, 5, v9
; %bb.1048:                             ;   in Loop: Header=BB4_912 Depth=3
	s_or_b32 exec_lo, exec_lo, s15
	s_delay_alu instid0(SALU_CYCLE_1)
	s_and_b32 s13, s14, exec_lo
.LBB4_1049:                             ;   in Loop: Header=BB4_912 Depth=3
	s_or_b32 exec_lo, exec_lo, s12
.LBB4_1050:                             ;   in Loop: Header=BB4_912 Depth=3
	s_and_saveexec_b32 s12, s13
	s_cbranch_execz .LBB4_1062
; %bb.1051:                             ;   in Loop: Header=BB4_912 Depth=3
	v_ashrrev_i32_e32 v8, 31, v2
	s_mov_b32 s14, exec_lo
	s_delay_alu instid0(VALU_DEP_1) | instskip(NEXT) | instid1(VALU_DEP_1)
	v_lshrrev_b32_e32 v8, 23, v8
	v_add_nc_u32_e32 v8, v2, v8
	s_delay_alu instid0(VALU_DEP_1) | instskip(NEXT) | instid1(VALU_DEP_1)
	v_ashrrev_i32_e32 v64, 9, v8
	v_sub_nc_u32_e32 v53, v64, v68
	s_delay_alu instid0(VALU_DEP_1)
	v_cmpx_lt_i32_e32 0, v53
	s_cbranch_execz .LBB4_1056
; %bb.1052:                             ;   in Loop: Header=BB4_912 Depth=3
	s_cbranch_execnz .LBB4_1911
; %bb.1053:                             ;   in Loop: Header=BB4_912 Depth=3
	v_ashrrev_i32_e32 v8, 31, v11
	v_lshlrev_b32_e32 v67, 9, v68
	s_mov_b32 s15, 0
	s_delay_alu instid0(VALU_DEP_2) | instskip(NEXT) | instid1(VALU_DEP_1)
	v_lshrrev_b32_e32 v8, 27, v8
	v_add_nc_u32_e32 v8, v11, v8
	s_delay_alu instid0(VALU_DEP_1) | instskip(NEXT) | instid1(VALU_DEP_1)
	v_and_b32_e32 v8, 0x1fffffe0, v8
	v_sub_nc_u32_e32 v65, v11, v8
	ds_load_b64 v[8:9], v0
	v_lshlrev_b32_e32 v65, 3, v65
	s_delay_alu instid0(VALU_DEP_1) | instskip(NEXT) | instid1(VALU_DEP_1)
	v_add3_u32 v65, v65, v10, v67
	v_ashrrev_i32_e32 v67, 31, v65
.LBB4_1054:                             ;   Parent Loop BB4_55 Depth=1
                                        ;     Parent Loop BB4_910 Depth=2
                                        ;       Parent Loop BB4_912 Depth=3
                                        ; =>      This Inner Loop Header: Depth=4
	s_waitcnt lgkmcnt(0)
	v_add_co_u32 v68, vcc_lo, v8, v65
	s_delay_alu instid0(VALU_DEP_2)
	v_add_co_ci_u32_e32 v69, vcc_lo, v9, v67, vcc_lo
	v_sub_nc_u32_e32 v53, v53, v86
	v_add_co_u32 v65, s13, v65, v114
	s_clause 0x1
	flat_load_b64 v[80:81], v[68:69] slc dlc
	flat_load_b64 v[82:83], v[68:69] offset:256 slc dlc
	v_add_co_ci_u32_e64 v67, s13, v67, v115, s13
	v_cmp_gt_i32_e32 vcc_lo, 1, v53
	s_waitcnt vmcnt(1) lgkmcnt(1)
	flat_store_b64 v[68:69], v[80:81] glc slc dlc
	s_waitcnt vmcnt(0) lgkmcnt(1)
	flat_store_b64 v[68:69], v[82:83] offset:256 glc slc dlc
	s_or_b32 s15, vcc_lo, s15
	s_delay_alu instid0(SALU_CYCLE_1)
	s_and_not1_b32 exec_lo, exec_lo, s15
	s_cbranch_execnz .LBB4_1054
; %bb.1055:                             ;   in Loop: Header=BB4_912 Depth=3
	s_or_b32 exec_lo, exec_lo, s15
.LBB4_1056:                             ;   in Loop: Header=BB4_912 Depth=3
	s_delay_alu instid0(SALU_CYCLE_1) | instskip(SKIP_2) | instid1(VALU_DEP_1)
	s_or_b32 exec_lo, exec_lo, s14
	v_lshlrev_b32_e32 v8, 9, v64
	s_mov_b32 s14, exec_lo
	v_cmpx_ne_u32_e64 v2, v8
	s_cbranch_execz .LBB4_1061
; %bb.1057:                             ;   in Loop: Header=BB4_912 Depth=3
	v_ashrrev_i32_e32 v9, 31, v11
	s_delay_alu instid0(VALU_DEP_1) | instskip(NEXT) | instid1(VALU_DEP_1)
	v_lshrrev_b32_e32 v9, 27, v9
	v_add_nc_u32_e32 v9, v11, v9
	s_delay_alu instid0(VALU_DEP_1) | instskip(NEXT) | instid1(VALU_DEP_1)
	v_and_b32_e32 v9, 0xffffffe0, v9
	v_sub_nc_u32_e32 v9, v11, v9
	v_lshlrev_b32_e32 v11, 5, v53
	s_delay_alu instid0(VALU_DEP_1) | instskip(NEXT) | instid1(VALU_DEP_1)
	v_sub_nc_u32_e32 v9, v9, v11
	v_ashrrev_i32_e32 v11, 31, v9
	s_delay_alu instid0(VALU_DEP_1) | instskip(NEXT) | instid1(VALU_DEP_1)
	v_lshrrev_b32_e32 v11, 27, v11
	v_add_nc_u32_e32 v11, v9, v11
	s_delay_alu instid0(VALU_DEP_1) | instskip(SKIP_1) | instid1(VALU_DEP_2)
	v_and_b32_e32 v53, 0x1fffffe0, v11
	v_lshlrev_b32_e32 v11, 3, v11
	v_sub_nc_u32_e32 v9, v9, v53
	s_delay_alu instid0(VALU_DEP_2) | instskip(NEXT) | instid1(VALU_DEP_2)
	v_and_b32_e32 v11, 0xffffff00, v11
	v_lshlrev_b32_e32 v9, 3, v9
	s_delay_alu instid0(VALU_DEP_1) | instskip(NEXT) | instid1(VALU_DEP_1)
	v_add3_u32 v11, v11, v9, v8
	v_sub_nc_u32_e32 v2, v2, v11
	s_delay_alu instid0(VALU_DEP_1)
	v_cmp_lt_i32_e32 vcc_lo, 7, v2
	s_and_b32 exec_lo, exec_lo, vcc_lo
	s_cbranch_execz .LBB4_1061
; %bb.1058:                             ;   in Loop: Header=BB4_912 Depth=3
	s_cbranch_execnz .LBB4_1947
; %bb.1059:                             ;   in Loop: Header=BB4_912 Depth=3
	ds_load_b64 v[8:9], v0
	v_add_nc_u32_e32 v10, v11, v10
	s_mov_b32 s15, 0
	s_delay_alu instid0(VALU_DEP_1)
	v_ashrrev_i32_e32 v11, 31, v10
.LBB4_1060:                             ;   Parent Loop BB4_55 Depth=1
                                        ;     Parent Loop BB4_910 Depth=2
                                        ;       Parent Loop BB4_912 Depth=3
                                        ; =>      This Inner Loop Header: Depth=4
	s_waitcnt lgkmcnt(0)
	v_add_co_u32 v64, vcc_lo, v8, v10
	s_delay_alu instid0(VALU_DEP_2)
	v_add_co_ci_u32_e32 v65, vcc_lo, v9, v11, vcc_lo
	v_sub_nc_u32_e32 v2, v2, v101
	v_add_co_u32 v10, s13, v10, v117
	flat_load_b64 v[67:68], v[64:65] slc dlc
	v_add_co_ci_u32_e64 v11, s13, v11, v118, s13
	v_cmp_gt_i32_e32 vcc_lo, 8, v2
	s_or_b32 s15, vcc_lo, s15
	s_waitcnt vmcnt(0) lgkmcnt(0)
	flat_store_b64 v[64:65], v[67:68] glc slc dlc
	s_and_not1_b32 exec_lo, exec_lo, s15
	s_cbranch_execnz .LBB4_1060
.LBB4_1061:                             ;   in Loop: Header=BB4_912 Depth=3
	s_or_b32 exec_lo, exec_lo, s14
.LBB4_1062:                             ;   in Loop: Header=BB4_912 Depth=3
	s_delay_alu instid0(SALU_CYCLE_1)
	s_or_b32 exec_lo, exec_lo, s12
.LBB4_1063:                             ;   in Loop: Header=BB4_912 Depth=3
	s_and_saveexec_b32 s12, s3
	s_cbranch_execz .LBB4_1085
; %bb.1064:                             ;   in Loop: Header=BB4_912 Depth=3
	s_and_saveexec_b32 s13, s4
	s_delay_alu instid0(SALU_CYCLE_1)
	s_xor_b32 s13, exec_lo, s13
	s_cbranch_execz .LBB4_1082
; %bb.1065:                             ;   in Loop: Header=BB4_912 Depth=3
	s_and_saveexec_b32 s14, s1
	s_cbranch_execz .LBB4_1081
; %bb.1066:                             ;   in Loop: Header=BB4_912 Depth=3
	s_mov_b32 s19, exec_lo
	s_mov_b32 s15, exec_lo
	v_mbcnt_lo_u32_b32 v2, s19, 0
	s_waitcnt lgkmcnt(0)
	s_waitcnt_vscnt null, 0x0
	buffer_gl1_inv
	buffer_gl0_inv
	v_cmpx_eq_u32_e32 0, v2
	s_cbranch_execz .LBB4_1068
; %bb.1067:                             ;   in Loop: Header=BB4_912 Depth=3
	s_bcnt1_i32_b32 s19, s19
	s_delay_alu instid0(SALU_CYCLE_1)
	v_mov_b32_e32 v2, s19
	ds_add_u64 v0, v[2:3]
	s_cbranch_execnz .LBB4_1895
.LBB4_1068:                             ;   in Loop: Header=BB4_912 Depth=3
	s_or_b32 exec_lo, exec_lo, s15
	s_cbranch_execnz .LBB4_1873
; %bb.1069:                             ;   in Loop: Header=BB4_912 Depth=3
	ds_load_b64 v[8:9], v0
	v_add_co_u32 v12, vcc_lo, v12, v86
	v_add_co_ci_u32_e32 v13, vcc_lo, 0, v13, vcc_lo
	s_mov_b32 s15, exec_lo
	s_waitcnt lgkmcnt(0)
	s_delay_alu instid0(VALU_DEP_1)
	v_cmpx_lt_u64_e64 v[8:9], v[12:13]
	s_cbranch_execz .LBB4_1080
; %bb.1070:                             ;   in Loop: Header=BB4_912 Depth=3
	s_mov_b32 s19, 0
	s_mov_b32 s38, 0
                                        ; implicit-def: $sgpr21
                                        ; implicit-def: $sgpr37
	s_branch .LBB4_1072
.LBB4_1071:                             ;   in Loop: Header=BB4_1072 Depth=4
	s_or_b32 exec_lo, exec_lo, s41
	s_delay_alu instid0(SALU_CYCLE_1) | instskip(NEXT) | instid1(SALU_CYCLE_1)
	s_and_b32 vcc_lo, exec_lo, vcc_lo
	s_or_b32 s19, vcc_lo, s19
	s_and_not1_b32 s21, s21, exec_lo
	s_and_b32 vcc_lo, s37, exec_lo
	s_delay_alu instid0(SALU_CYCLE_1)
	s_or_b32 s21, s21, vcc_lo
	s_and_not1_b32 exec_lo, exec_lo, s19
	s_cbranch_execz .LBB4_1078
.LBB4_1072:                             ;   Parent Loop BB4_55 Depth=1
                                        ;     Parent Loop BB4_910 Depth=2
                                        ;       Parent Loop BB4_912 Depth=3
                                        ; =>      This Inner Loop Header: Depth=4
	s_add_i32 s38, s38, 1
                                        ; implicit-def: $sgpr41
	s_delay_alu instid0(SALU_CYCLE_1) | instskip(SKIP_1) | instid1(SALU_CYCLE_1)
	s_cmpk_lg_i32 s38, 0x2710
	s_cselect_b32 s40, -1, 0
	s_and_b32 vcc_lo, exec_lo, s40
	s_cbranch_vccz .LBB4_1076
.LBB4_1073:                             ;   in Loop: Header=BB4_1072 Depth=4
	s_and_not1_b32 s37, s37, exec_lo
	s_and_b32 s41, s41, exec_lo
	s_mov_b32 vcc_lo, -1
	s_or_b32 s37, s37, s41
	s_and_saveexec_b32 s41, s40
	s_cbranch_execz .LBB4_1071
; %bb.1074:                             ;   in Loop: Header=BB4_1072 Depth=4
	s_sleep 1
	s_cbranch_execnz .LBB4_1927
; %bb.1075:                             ;   in Loop: Header=BB4_1072 Depth=4
	ds_load_b64 v[8:9], v0
	s_and_not1_b32 s37, s37, exec_lo
	s_waitcnt lgkmcnt(0)
	v_cmp_ge_u64_e32 vcc_lo, v[8:9], v[12:13]
	s_or_not1_b32 vcc_lo, vcc_lo, exec_lo
	s_branch .LBB4_1071
.LBB4_1076:                             ;   in Loop: Header=BB4_1072 Depth=4
	s_cbranch_execnz .LBB4_1935
; %bb.1077:                             ;   in Loop: Header=BB4_1072 Depth=4
	ds_load_b64 v[8:9], v0
	s_and_not1_b32 s40, s40, exec_lo
	s_mov_b32 s38, 0
	s_mov_b32 s41, -1
	s_waitcnt lgkmcnt(0)
	flat_load_b32 v2, v[8:9] glc
	s_waitcnt vmcnt(0) lgkmcnt(0)
	buffer_gl1_inv
	buffer_gl0_inv
	v_cmp_eq_u32_e32 vcc_lo, 0, v2
	s_and_b32 vcc_lo, vcc_lo, exec_lo
	s_delay_alu instid0(SALU_CYCLE_1)
	s_or_b32 s40, s40, vcc_lo
	s_branch .LBB4_1073
.LBB4_1078:                             ;   in Loop: Header=BB4_912 Depth=3
	s_or_b32 exec_lo, exec_lo, s19
	s_and_saveexec_b32 s19, s21
	s_delay_alu instid0(SALU_CYCLE_1)
	s_xor_b32 s19, exec_lo, s19
	s_cbranch_execz .LBB4_1080
; %bb.1079:                             ;   in Loop: Header=BB4_912 Depth=3
	ds_store_b32 v0, v131
	s_cbranch_execnz .LBB4_1981
.LBB4_1080:                             ;   in Loop: Header=BB4_912 Depth=3
	s_or_b32 exec_lo, exec_lo, s15
	;;#ASMSTART
	s_wakeup
	;;#ASMEND
.LBB4_1081:                             ;   in Loop: Header=BB4_912 Depth=3
	s_or_b32 exec_lo, exec_lo, s14
.LBB4_1082:                             ;   in Loop: Header=BB4_912 Depth=3
	s_and_not1_saveexec_b32 s13, s13
	s_cbranch_execz .LBB4_1084
; %bb.1083:                             ;   in Loop: Header=BB4_912 Depth=3
	s_waitcnt lgkmcnt(0)
	s_waitcnt_vscnt null, 0x0
	buffer_gl1_inv
	buffer_gl0_inv
	s_barrier
.LBB4_1084:                             ;   in Loop: Header=BB4_912 Depth=3
	s_or_b32 exec_lo, exec_lo, s13
.LBB4_1085:                             ;   in Loop: Header=BB4_912 Depth=3
	s_delay_alu instid0(SALU_CYCLE_1) | instskip(SKIP_1) | instid1(SALU_CYCLE_1)
	s_or_b32 exec_lo, exec_lo, s12
                                        ; implicit-def: $vgpr2
	s_and_saveexec_b32 s12, s7
	s_xor_b32 s12, exec_lo, s12
	s_cbranch_execz .LBB4_1089
; %bb.1086:                             ;   in Loop: Header=BB4_912 Depth=3
	v_and_b32_e32 v2, 16, v30
	v_cmp_lt_i32_e32 vcc_lo, 0, v51
	s_delay_alu instid0(VALU_DEP_2) | instskip(SKIP_1) | instid1(VALU_DEP_2)
	v_cmp_ne_u32_e64 s13, 0, v2
	v_and_b32_e32 v2, 16, v30
	s_and_b32 s14, s13, vcc_lo
	s_delay_alu instid0(SALU_CYCLE_1)
	s_and_saveexec_b32 s13, s14
	s_cbranch_execz .LBB4_1088
; %bb.1087:                             ;   in Loop: Header=BB4_912 Depth=3
	v_mov_b32_e32 v2, 1
	s_waitcnt lgkmcnt(0)
	s_waitcnt_vscnt null, 0x0
	buffer_gl1_inv
	buffer_gl0_inv
.LBB4_1088:                             ;   in Loop: Header=BB4_912 Depth=3
	s_or_b32 exec_lo, exec_lo, s13
.LBB4_1089:                             ;   in Loop: Header=BB4_912 Depth=3
	s_and_not1_saveexec_b32 s12, s12
	s_cbranch_execz .LBB4_1111
; %bb.1090:                             ;   in Loop: Header=BB4_912 Depth=3
	s_and_saveexec_b32 s13, s4
	s_delay_alu instid0(SALU_CYCLE_1)
	s_xor_b32 s13, exec_lo, s13
	s_cbranch_execz .LBB4_1108
; %bb.1091:                             ;   in Loop: Header=BB4_912 Depth=3
	s_and_saveexec_b32 s14, s1
	s_cbranch_execz .LBB4_1107
; %bb.1092:                             ;   in Loop: Header=BB4_912 Depth=3
	s_mov_b32 s19, exec_lo
	s_mov_b32 s15, exec_lo
	v_mbcnt_lo_u32_b32 v2, s19, 0
	;;#ASMSTART
	s_waitcnt lgkmcnt(0) vmcnt(0)
	;;#ASMEND
	s_delay_alu instid0(VALU_DEP_1)
	v_cmpx_eq_u32_e32 0, v2
	s_cbranch_execz .LBB4_1094
; %bb.1093:                             ;   in Loop: Header=BB4_912 Depth=3
	s_bcnt1_i32_b32 s19, s19
	s_delay_alu instid0(SALU_CYCLE_1)
	v_mov_b32_e32 v2, s19
	ds_add_u64 v0, v[2:3]
	s_cbranch_execnz .LBB4_1897
.LBB4_1094:                             ;   in Loop: Header=BB4_912 Depth=3
	s_or_b32 exec_lo, exec_lo, s15
	s_cbranch_execnz .LBB4_1877
; %bb.1095:                             ;   in Loop: Header=BB4_912 Depth=3
	ds_load_b64 v[8:9], v0
	v_add_co_u32 v12, vcc_lo, v12, v86
	v_add_co_ci_u32_e32 v13, vcc_lo, 0, v13, vcc_lo
	s_mov_b32 s15, exec_lo
	s_waitcnt lgkmcnt(0)
	s_delay_alu instid0(VALU_DEP_1)
	v_cmpx_lt_u64_e64 v[8:9], v[12:13]
	s_cbranch_execz .LBB4_1106
; %bb.1096:                             ;   in Loop: Header=BB4_912 Depth=3
	s_mov_b32 s19, 0
	s_mov_b32 s38, 0
                                        ; implicit-def: $sgpr21
                                        ; implicit-def: $sgpr37
	s_branch .LBB4_1098
.LBB4_1097:                             ;   in Loop: Header=BB4_1098 Depth=4
	s_or_b32 exec_lo, exec_lo, s41
	s_delay_alu instid0(SALU_CYCLE_1) | instskip(NEXT) | instid1(SALU_CYCLE_1)
	s_and_b32 vcc_lo, exec_lo, vcc_lo
	s_or_b32 s19, vcc_lo, s19
	s_and_not1_b32 s21, s21, exec_lo
	s_and_b32 vcc_lo, s37, exec_lo
	s_delay_alu instid0(SALU_CYCLE_1)
	s_or_b32 s21, s21, vcc_lo
	s_and_not1_b32 exec_lo, exec_lo, s19
	s_cbranch_execz .LBB4_1104
.LBB4_1098:                             ;   Parent Loop BB4_55 Depth=1
                                        ;     Parent Loop BB4_910 Depth=2
                                        ;       Parent Loop BB4_912 Depth=3
                                        ; =>      This Inner Loop Header: Depth=4
	s_add_i32 s38, s38, 1
                                        ; implicit-def: $sgpr41
	s_delay_alu instid0(SALU_CYCLE_1) | instskip(SKIP_1) | instid1(SALU_CYCLE_1)
	s_cmpk_lg_i32 s38, 0x2710
	s_cselect_b32 s40, -1, 0
	s_and_b32 vcc_lo, exec_lo, s40
	s_cbranch_vccnz .LBB4_1101
; %bb.1099:                             ;   in Loop: Header=BB4_1098 Depth=4
	s_cbranch_execnz .LBB4_1939
; %bb.1100:                             ;   in Loop: Header=BB4_1098 Depth=4
	ds_load_b64 v[8:9], v0
	s_and_not1_b32 s40, s40, exec_lo
	s_mov_b32 s38, 0
	s_mov_b32 s41, -1
	s_waitcnt lgkmcnt(0)
	s_waitcnt_vscnt null, 0x0
	flat_load_b32 v2, v[8:9] glc
	s_waitcnt vmcnt(0) lgkmcnt(0)
	buffer_gl1_inv
	buffer_gl0_inv
	v_cmp_eq_u32_e32 vcc_lo, 0, v2
	s_and_b32 vcc_lo, vcc_lo, exec_lo
	s_delay_alu instid0(SALU_CYCLE_1)
	s_or_b32 s40, s40, vcc_lo
.LBB4_1101:                             ;   in Loop: Header=BB4_1098 Depth=4
	s_and_not1_b32 s37, s37, exec_lo
	s_and_b32 s41, s41, exec_lo
	s_mov_b32 vcc_lo, -1
	s_or_b32 s37, s37, s41
	s_and_saveexec_b32 s41, s40
	s_cbranch_execz .LBB4_1097
; %bb.1102:                             ;   in Loop: Header=BB4_1098 Depth=4
	s_sleep 1
	s_cbranch_execnz .LBB4_1933
; %bb.1103:                             ;   in Loop: Header=BB4_1098 Depth=4
	ds_load_b64 v[8:9], v0
	s_and_not1_b32 s37, s37, exec_lo
	s_waitcnt lgkmcnt(0)
	v_cmp_ge_u64_e32 vcc_lo, v[8:9], v[12:13]
	s_or_not1_b32 vcc_lo, vcc_lo, exec_lo
	s_branch .LBB4_1097
.LBB4_1104:                             ;   in Loop: Header=BB4_912 Depth=3
	s_or_b32 exec_lo, exec_lo, s19
	s_and_saveexec_b32 s19, s21
	s_delay_alu instid0(SALU_CYCLE_1)
	s_xor_b32 s19, exec_lo, s19
	s_cbranch_execz .LBB4_1106
; %bb.1105:                             ;   in Loop: Header=BB4_912 Depth=3
	ds_store_b32 v0, v131
	s_cbranch_execnz .LBB4_1983
.LBB4_1106:                             ;   in Loop: Header=BB4_912 Depth=3
	s_or_b32 exec_lo, exec_lo, s15
	;;#ASMSTART
	s_wakeup
	;;#ASMEND
.LBB4_1107:                             ;   in Loop: Header=BB4_912 Depth=3
	s_or_b32 exec_lo, exec_lo, s14
.LBB4_1108:                             ;   in Loop: Header=BB4_912 Depth=3
	s_and_not1_saveexec_b32 s13, s13
	s_cbranch_execz .LBB4_1110
; %bb.1109:                             ;   in Loop: Header=BB4_912 Depth=3
	;;#ASMSTART
	s_waitcnt lgkmcnt(0) vmcnt(0)
	;;#ASMEND
	s_waitcnt lgkmcnt(0)
	s_waitcnt_vscnt null, 0x0
	s_barrier
.LBB4_1110:                             ;   in Loop: Header=BB4_912 Depth=3
	s_or_b32 exec_lo, exec_lo, s13
	v_and_b32_e32 v2, 16, v30
.LBB4_1111:                             ;   in Loop: Header=BB4_912 Depth=3
	s_or_b32 exec_lo, exec_lo, s12
	s_delay_alu instid0(VALU_DEP_1) | instskip(SKIP_1) | instid1(SALU_CYCLE_1)
	v_cmp_ne_u32_e32 vcc_lo, 0, v2
	s_xor_b32 s12, s10, -1
	s_and_b32 s13, vcc_lo, s12
	s_delay_alu instid0(SALU_CYCLE_1)
	s_and_saveexec_b32 s12, s13
	s_cbranch_execz .LBB4_1113
; %bb.1112:                             ;   in Loop: Header=BB4_912 Depth=3
	s_waitcnt lgkmcnt(0)
	s_waitcnt_vscnt null, 0x0
	flat_store_b32 v[26:27], v131
.LBB4_1113:                             ;   in Loop: Header=BB4_912 Depth=3
	s_or_b32 exec_lo, exec_lo, s12
	v_and_b32_e32 v2, 48, v30
	s_mov_b32 s12, exec_lo
	s_delay_alu instid0(VALU_DEP_1)
	v_cmpx_ne_u32_e32 0, v2
	s_cbranch_execz .LBB4_1115
; %bb.1114:                             ;   in Loop: Header=BB4_912 Depth=3
	v_add_co_u32 v22, vcc_lo, v22, 2
	v_add_co_ci_u32_e32 v23, vcc_lo, 0, v23, vcc_lo
	s_waitcnt lgkmcnt(0)
	s_waitcnt_vscnt null, 0x0
	flat_store_b64 v[20:21], v[22:23]
.LBB4_1115:                             ;   in Loop: Header=BB4_912 Depth=3
	s_or_b32 exec_lo, exec_lo, s12
	v_add_nc_u32_e32 v52, v50, v52
	s_xor_b32 s12, s35, -1
	v_mov_b32_e32 v2, s36
	s_mov_b32 s35, 0
	s_mov_b32 s36, 2
	v_cmp_ge_i32_e32 vcc_lo, v52, v66
	s_or_b32 s12, s12, vcc_lo
	s_delay_alu instid0(SALU_CYCLE_1) | instskip(NEXT) | instid1(SALU_CYCLE_1)
	s_and_b32 s12, exec_lo, s12
	s_or_b32 s34, s12, s34
	s_delay_alu instid0(SALU_CYCLE_1)
	s_and_not1_b32 exec_lo, exec_lo, s34
	s_cbranch_execnz .LBB4_912
; %bb.1116:                             ;   in Loop: Header=BB4_910 Depth=2
	s_or_b32 exec_lo, exec_lo, s34
.LBB4_1117:                             ;   in Loop: Header=BB4_910 Depth=2
	s_delay_alu instid0(SALU_CYCLE_1) | instskip(NEXT) | instid1(SALU_CYCLE_1)
	s_or_b32 exec_lo, exec_lo, s31
	s_mov_b32 s12, exec_lo
	v_cmpx_gt_i32_e32 2, v2
	s_cbranch_execz .LBB4_1201
; %bb.1118:                             ;   in Loop: Header=BB4_910 Depth=2
	v_cmp_eq_u32_e64 s13, 0, v2
	s_mov_b32 s14, 0
.LBB4_1119:                             ;   Parent Loop BB4_55 Depth=1
                                        ;     Parent Loop BB4_910 Depth=2
                                        ; =>    This Loop Header: Depth=3
                                        ;         Child Loop BB4_1125 Depth 4
                                        ;         Child Loop BB4_1155 Depth 4
	;; [unrolled: 1-line block ×3, first 2 shown]
	v_and_b32_e32 v2, 12, v30
	s_mov_b32 s19, -1
	s_mov_b32 s15, exec_lo
	s_delay_alu instid0(VALU_DEP_1)
	v_cmpx_ne_u32_e32 0, v2
	s_cbranch_execz .LBB4_1133
; %bb.1120:                             ;   in Loop: Header=BB4_1119 Depth=3
	v_and_b32_e32 v2, 8, v30
	s_delay_alu instid0(VALU_DEP_1) | instskip(SKIP_3) | instid1(VALU_DEP_1)
	v_add_co_u32 v10, vcc_lo, v28, v2
	v_add_co_ci_u32_e32 v11, vcc_lo, 0, v29, vcc_lo
	v_add_co_u32 v8, vcc_lo, v22, 2
	v_add_co_ci_u32_e32 v9, vcc_lo, 0, v23, vcc_lo
	v_cmp_lt_u64_e32 vcc_lo, v[10:11], v[8:9]
	v_mov_b32_e32 v10, 1
	s_and_saveexec_b32 s19, vcc_lo
	s_cbranch_execz .LBB4_1132
; %bb.1121:                             ;   in Loop: Header=BB4_1119 Depth=3
	v_mov_b32_e32 v10, 0
	s_mov_b32 s21, 0
                                        ; implicit-def: $sgpr31
	s_branch .LBB4_1125
.LBB4_1122:                             ;   in Loop: Header=BB4_1125 Depth=4
	s_or_b32 exec_lo, exec_lo, s37
	v_mov_b32_e32 v11, 0
	s_or_not1_b32 s36, s36, exec_lo
.LBB4_1123:                             ;   in Loop: Header=BB4_1125 Depth=4
	s_or_b32 exec_lo, exec_lo, s35
	s_delay_alu instid0(VALU_DEP_1) | instskip(SKIP_2) | instid1(SALU_CYCLE_1)
	v_mov_b32_e32 v10, v11
	s_and_not1_b32 vcc_lo, s31, exec_lo
	s_and_b32 s31, s36, exec_lo
	s_or_b32 s31, vcc_lo, s31
.LBB4_1124:                             ;   in Loop: Header=BB4_1125 Depth=4
	s_or_b32 exec_lo, exec_lo, s34
	s_waitcnt vmcnt(0) lgkmcnt(0)
	v_add_co_u32 v53, vcc_lo, v28, v2
	v_add_co_ci_u32_e32 v54, vcc_lo, 0, v29, vcc_lo
	s_xor_b32 s34, s31, -1
	s_delay_alu instid0(VALU_DEP_1) | instskip(SKIP_1) | instid1(SALU_CYCLE_1)
	v_cmp_ge_u64_e32 vcc_lo, v[53:54], v[8:9]
	s_or_b32 vcc_lo, s34, vcc_lo
	s_and_b32 vcc_lo, exec_lo, vcc_lo
	s_delay_alu instid0(SALU_CYCLE_1) | instskip(NEXT) | instid1(SALU_CYCLE_1)
	s_or_b32 s21, vcc_lo, s21
	s_and_not1_b32 exec_lo, exec_lo, s21
	s_cbranch_execz .LBB4_1131
.LBB4_1125:                             ;   Parent Loop BB4_55 Depth=1
                                        ;     Parent Loop BB4_910 Depth=2
                                        ;       Parent Loop BB4_1119 Depth=3
                                        ; =>      This Inner Loop Header: Depth=4
	s_sleep 1
	flat_load_b64 v[28:29], v[20:21] glc
	v_and_b32_e32 v11, 64, v30
	s_and_not1_b32 s31, s31, exec_lo
	s_mov_b32 s34, exec_lo
	s_delay_alu instid0(VALU_DEP_1)
	v_cmpx_eq_u32_e32 0, v11
	s_cbranch_execz .LBB4_1124
; %bb.1126:                             ;   in Loop: Header=BB4_1125 Depth=4
	v_add_nc_u32_e32 v11, 1, v10
	s_mov_b32 s36, -1
	s_mov_b32 s35, exec_lo
	v_cmpx_lt_i32_e32 0x270e, v10
	s_cbranch_execz .LBB4_1123
; %bb.1127:                             ;   in Loop: Header=BB4_1125 Depth=4
	s_cbranch_execnz .LBB4_1641
; %bb.1128:                             ;   in Loop: Header=BB4_1125 Depth=4
	ds_load_b64 v[10:11], v0
	s_mov_b32 s37, exec_lo
	s_waitcnt vmcnt(0) lgkmcnt(0)
	s_waitcnt_vscnt null, 0x0
	flat_load_b32 v10, v[10:11] glc
	s_waitcnt vmcnt(0) lgkmcnt(0)
	buffer_gl1_inv
	buffer_gl0_inv
	v_cmpx_ne_u32_e32 0, v10
	s_cbranch_execz .LBB4_1122
; %bb.1129:                             ;   in Loop: Header=BB4_1125 Depth=4
	ds_store_b32 v0, v10
	s_cbranch_execnz .LBB4_1725
; %bb.1130:                             ;   in Loop: Header=BB4_1125 Depth=4
	v_or_b32_e32 v30, 64, v30
	s_xor_b32 s36, exec_lo, -1
	s_branch .LBB4_1122
.LBB4_1131:                             ;   in Loop: Header=BB4_1119 Depth=3
	s_or_b32 exec_lo, exec_lo, s21
	v_and_b32_e32 v10, 12, v30
.LBB4_1132:                             ;   in Loop: Header=BB4_1119 Depth=3
	s_or_b32 exec_lo, exec_lo, s19
	s_delay_alu instid0(VALU_DEP_1)
	v_cmp_eq_u32_e32 vcc_lo, 0, v10
	;;#ASMSTART
	s_wakeup
	;;#ASMEND
	s_or_not1_b32 s19, vcc_lo, exec_lo
.LBB4_1133:                             ;   in Loop: Header=BB4_1119 Depth=3
	s_or_b32 exec_lo, exec_lo, s15
	v_sub_nc_u32_e32 v2, v66, v52
	s_xor_b32 s13, s13, -1
	s_delay_alu instid0(SALU_CYCLE_1) | instskip(NEXT) | instid1(SALU_CYCLE_1)
	s_and_b32 s13, exec_lo, s13
	s_or_b32 s14, s13, s14
	s_delay_alu instid0(VALU_DEP_1) | instskip(SKIP_1) | instid1(SALU_CYCLE_1)
	v_min_i32_e32 v50, v50, v2
	s_xor_b32 s13, s19, -1
	s_and_saveexec_b32 s15, s13
	s_cbranch_execz .LBB4_1146
; %bb.1134:                             ;   in Loop: Header=BB4_1119 Depth=3
	v_and_b32_e32 v2, 0x108, v30
	s_delay_alu instid0(VALU_DEP_1) | instskip(SKIP_2) | instid1(SALU_CYCLE_1)
	v_cmp_ne_u32_e32 vcc_lo, 0x108, v2
	v_and_b32_e32 v2, 7, v22
	s_and_saveexec_b32 s13, vcc_lo
	s_xor_b32 s13, exec_lo, s13
	s_delay_alu instid0(SALU_CYCLE_1)
	s_and_not1_saveexec_b32 s13, s13
	s_cbranch_execz .LBB4_1136
; %bb.1135:                             ;   in Loop: Header=BB4_1119 Depth=3
	v_ashrrev_i32_e32 v51, 31, v50
	v_mad_u64_u32 v[8:9], null, v2, 24, v[6:7]
	s_delay_alu instid0(VALU_DEP_2)
	v_lshlrev_b64 v[10:11], 3, v[50:51]
	flat_store_b64 v[8:9], v[10:11] offset:8
.LBB4_1136:                             ;   in Loop: Header=BB4_1119 Depth=3
	s_or_b32 exec_lo, exec_lo, s13
	v_and_b32_e32 v8, 0x100, v30
	s_mov_b32 s13, -1
	s_delay_alu instid0(VALU_DEP_1)
	v_cmp_ne_u32_e32 vcc_lo, 0, v8
                                        ; implicit-def: $vgpr8_vgpr9
	s_and_saveexec_b32 s19, vcc_lo
	s_cbranch_execz .LBB4_1141
; %bb.1137:                             ;   in Loop: Header=BB4_1119 Depth=3
	v_mad_u64_u32 v[10:11], null, v2, 24, v[6:7]
	s_delay_alu instid0(VALU_DEP_1) | instskip(NEXT) | instid1(VALU_DEP_1)
	v_mov_b32_e32 v8, v11
	v_mad_u64_u32 v[53:54], null, v3, 24, v[8:9]
	s_delay_alu instid0(VALU_DEP_1) | instskip(SKIP_4) | instid1(VALU_DEP_1)
	v_mov_b32_e32 v11, v53
	flat_load_b32 v8, v[10:11]
	s_waitcnt vmcnt(0) lgkmcnt(0)
	v_cmp_ne_u32_e32 vcc_lo, 1, v8
	v_cmp_eq_u32_e64 s13, 1, v8
                                        ; implicit-def: $vgpr8_vgpr9
	s_and_saveexec_b32 s21, s13
	s_cbranch_execz .LBB4_1139
; %bb.1138:                             ;   in Loop: Header=BB4_1119 Depth=3
	flat_load_b32 v8, v[10:11] offset:4 glc
	s_waitcnt vmcnt(0) lgkmcnt(0)
	v_ashrrev_i32_e32 v9, 31, v8
	s_delay_alu instid0(VALU_DEP_1)
	v_lshrrev_b64 v[8:9], 3, v[8:9]
.LBB4_1139:                             ;   in Loop: Header=BB4_1119 Depth=3
	s_or_b32 exec_lo, exec_lo, s21
	s_delay_alu instid0(SALU_CYCLE_1)
	s_or_not1_b32 s13, vcc_lo, exec_lo
	s_or_b32 exec_lo, exec_lo, s19
	s_and_saveexec_b32 s19, s13
	s_cbranch_execnz .LBB4_1142
.LBB4_1140:                             ;   in Loop: Header=BB4_1119 Depth=3
	s_or_b32 exec_lo, exec_lo, s19
	s_cbranch_execz .LBB4_1143
	s_branch .LBB4_1631
.LBB4_1141:                             ;   in Loop: Header=BB4_1119 Depth=3
	s_or_b32 exec_lo, exec_lo, s19
	s_and_saveexec_b32 s19, s13
	s_cbranch_execz .LBB4_1140
.LBB4_1142:                             ;   in Loop: Header=BB4_1119 Depth=3
	v_mul_lo_u32 v10, v3, v84
	v_mul_lo_u32 v11, v2, v85
	v_mad_u64_u32 v[8:9], null, v2, v84, 0
	s_delay_alu instid0(VALU_DEP_1)
	v_add3_u32 v9, v9, v11, v10
	s_or_b32 exec_lo, exec_lo, s19
	s_cbranch_execnz .LBB4_1631
.LBB4_1143:                             ;   in Loop: Header=BB4_1119 Depth=3
	s_delay_alu instid0(VALU_DEP_1) | instskip(SKIP_2) | instid1(VALU_DEP_2)
	v_lshlrev_b64 v[8:9], 3, v[8:9]
	v_and_b32_e32 v2, 0x2000, v30
	s_mov_b32 s13, exec_lo
	v_add_co_u32 v8, vcc_lo, v24, v8
	s_delay_alu instid0(VALU_DEP_3)
	v_add_co_ci_u32_e32 v9, vcc_lo, v25, v9, vcc_lo
	ds_store_b64 v0, v[8:9]
	v_cmpx_ne_u32_e32 0, v2
	s_cbranch_execz .LBB4_1145
; %bb.1144:                             ;   in Loop: Header=BB4_1119 Depth=3
	ds_load_b64 v[8:9], v0 offset:584
	s_waitcnt lgkmcnt(0)
	v_add_co_u32 v8, vcc_lo, v8, 1
	v_add_co_ci_u32_e32 v9, vcc_lo, 0, v9, vcc_lo
	ds_store_b64 v0, v[8:9] offset:584
.LBB4_1145:                             ;   in Loop: Header=BB4_1119 Depth=3
	s_or_b32 exec_lo, exec_lo, s13
	v_add_co_u32 v22, vcc_lo, v22, 2
	v_add_co_ci_u32_e32 v23, vcc_lo, 0, v23, vcc_lo
.LBB4_1146:                             ;   in Loop: Header=BB4_1119 Depth=3
	s_or_b32 exec_lo, exec_lo, s15
	s_and_saveexec_b32 s13, s3
	s_cbranch_execz .LBB4_1168
; %bb.1147:                             ;   in Loop: Header=BB4_1119 Depth=3
	s_and_saveexec_b32 s15, s4
	s_delay_alu instid0(SALU_CYCLE_1)
	s_xor_b32 s15, exec_lo, s15
	s_cbranch_execz .LBB4_1165
; %bb.1148:                             ;   in Loop: Header=BB4_1119 Depth=3
	s_and_saveexec_b32 s19, s1
	s_cbranch_execz .LBB4_1164
; %bb.1149:                             ;   in Loop: Header=BB4_1119 Depth=3
	s_mov_b32 s31, exec_lo
	s_mov_b32 s21, exec_lo
	v_mbcnt_lo_u32_b32 v2, s31, 0
	s_waitcnt lgkmcnt(0)
	s_waitcnt_vscnt null, 0x0
	buffer_gl1_inv
	buffer_gl0_inv
	v_cmpx_eq_u32_e32 0, v2
	s_cbranch_execz .LBB4_1151
; %bb.1150:                             ;   in Loop: Header=BB4_1119 Depth=3
	s_bcnt1_i32_b32 vcc_lo, s31
	s_delay_alu instid0(SALU_CYCLE_1)
	v_mov_b32_e32 v2, vcc_lo
	ds_add_u64 v0, v[2:3]
	s_cbranch_execnz .LBB4_1781
.LBB4_1151:                             ;   in Loop: Header=BB4_1119 Depth=3
	s_or_b32 exec_lo, exec_lo, s21
	s_cbranch_execnz .LBB4_1751
; %bb.1152:                             ;   in Loop: Header=BB4_1119 Depth=3
	ds_load_b64 v[8:9], v0
	v_add_co_u32 v12, vcc_lo, v12, v86
	v_add_co_ci_u32_e32 v13, vcc_lo, 0, v13, vcc_lo
	s_mov_b32 s21, exec_lo
	s_waitcnt lgkmcnt(0)
	s_delay_alu instid0(VALU_DEP_1)
	v_cmpx_lt_u64_e64 v[8:9], v[12:13]
	s_cbranch_execz .LBB4_1163
; %bb.1153:                             ;   in Loop: Header=BB4_1119 Depth=3
	s_mov_b32 s31, 0
	s_mov_b32 s36, 0
                                        ; implicit-def: $sgpr34
                                        ; implicit-def: $sgpr35
	s_branch .LBB4_1155
.LBB4_1154:                             ;   in Loop: Header=BB4_1155 Depth=4
	s_or_b32 exec_lo, exec_lo, s38
	s_delay_alu instid0(SALU_CYCLE_1) | instskip(NEXT) | instid1(SALU_CYCLE_1)
	s_and_b32 vcc_lo, exec_lo, vcc_lo
	s_or_b32 s31, vcc_lo, s31
	s_and_not1_b32 vcc_lo, s34, exec_lo
	s_and_b32 s34, s35, exec_lo
	s_delay_alu instid0(SALU_CYCLE_1)
	s_or_b32 s34, vcc_lo, s34
	s_and_not1_b32 exec_lo, exec_lo, s31
	s_cbranch_execz .LBB4_1161
.LBB4_1155:                             ;   Parent Loop BB4_55 Depth=1
                                        ;     Parent Loop BB4_910 Depth=2
                                        ;       Parent Loop BB4_1119 Depth=3
                                        ; =>      This Inner Loop Header: Depth=4
	s_add_i32 s36, s36, 1
                                        ; implicit-def: $sgpr38
	s_delay_alu instid0(SALU_CYCLE_1) | instskip(SKIP_1) | instid1(SALU_CYCLE_1)
	s_cmpk_lg_i32 s36, 0x2710
	s_cselect_b32 s37, -1, 0
	s_and_b32 vcc_lo, exec_lo, s37
	s_cbranch_vccz .LBB4_1159
.LBB4_1156:                             ;   in Loop: Header=BB4_1155 Depth=4
	s_and_not1_b32 s35, s35, exec_lo
	s_and_b32 s38, s38, exec_lo
	s_mov_b32 vcc_lo, -1
	s_or_b32 s35, s35, s38
	s_and_saveexec_b32 s38, s37
	s_cbranch_execz .LBB4_1154
; %bb.1157:                             ;   in Loop: Header=BB4_1155 Depth=4
	s_sleep 1
	s_cbranch_execnz .LBB4_1833
; %bb.1158:                             ;   in Loop: Header=BB4_1155 Depth=4
	ds_load_b64 v[8:9], v0
	s_and_not1_b32 s35, s35, exec_lo
	s_waitcnt lgkmcnt(0)
	v_cmp_ge_u64_e32 vcc_lo, v[8:9], v[12:13]
	s_or_not1_b32 vcc_lo, vcc_lo, exec_lo
	s_branch .LBB4_1154
.LBB4_1159:                             ;   in Loop: Header=BB4_1155 Depth=4
	s_cbranch_execnz .LBB4_1849
; %bb.1160:                             ;   in Loop: Header=BB4_1155 Depth=4
	ds_load_b64 v[8:9], v0
	s_and_not1_b32 s37, s37, exec_lo
	s_mov_b32 s36, 0
	s_mov_b32 s38, -1
	s_waitcnt lgkmcnt(0)
	flat_load_b32 v2, v[8:9] glc
	s_waitcnt vmcnt(0) lgkmcnt(0)
	buffer_gl1_inv
	buffer_gl0_inv
	v_cmp_eq_u32_e32 vcc_lo, 0, v2
	s_and_b32 vcc_lo, vcc_lo, exec_lo
	s_delay_alu instid0(SALU_CYCLE_1)
	s_or_b32 s37, s37, vcc_lo
	s_branch .LBB4_1156
.LBB4_1161:                             ;   in Loop: Header=BB4_1119 Depth=3
	s_or_b32 exec_lo, exec_lo, s31
	s_and_saveexec_b32 vcc_lo, s34
	s_delay_alu instid0(SALU_CYCLE_1)
	s_xor_b32 vcc_lo, exec_lo, vcc_lo
	s_cbranch_execz .LBB4_1163
; %bb.1162:                             ;   in Loop: Header=BB4_1119 Depth=3
	ds_store_b32 v0, v131
	s_cbranch_execnz .LBB4_1963
.LBB4_1163:                             ;   in Loop: Header=BB4_1119 Depth=3
	s_or_b32 exec_lo, exec_lo, s21
	;;#ASMSTART
	s_wakeup
	;;#ASMEND
.LBB4_1164:                             ;   in Loop: Header=BB4_1119 Depth=3
	s_or_b32 exec_lo, exec_lo, s19
.LBB4_1165:                             ;   in Loop: Header=BB4_1119 Depth=3
	s_and_not1_saveexec_b32 s15, s15
	s_cbranch_execz .LBB4_1167
; %bb.1166:                             ;   in Loop: Header=BB4_1119 Depth=3
	s_waitcnt lgkmcnt(0)
	s_waitcnt_vscnt null, 0x0
	buffer_gl1_inv
	buffer_gl0_inv
	s_barrier
.LBB4_1167:                             ;   in Loop: Header=BB4_1119 Depth=3
	s_or_b32 exec_lo, exec_lo, s15
.LBB4_1168:                             ;   in Loop: Header=BB4_1119 Depth=3
	s_delay_alu instid0(SALU_CYCLE_1) | instskip(SKIP_1) | instid1(SALU_CYCLE_1)
	s_or_b32 exec_lo, exec_lo, s13
                                        ; implicit-def: $vgpr2
	s_and_saveexec_b32 s13, s7
	s_xor_b32 s15, exec_lo, s13
	s_cbranch_execz .LBB4_1173
; %bb.1169:                             ;   in Loop: Header=BB4_1119 Depth=3
	s_cbranch_execnz .LBB4_1663
; %bb.1170:                             ;   in Loop: Header=BB4_1119 Depth=3
	ds_load_b32 v2, v0
	v_cmp_lt_i32_e32 vcc_lo, 0, v50
	s_waitcnt lgkmcnt(0)
	v_readfirstlane_b32 s13, v2
	v_and_b32_e32 v2, 16, v30
	s_delay_alu instid0(VALU_DEP_2) | instskip(NEXT) | instid1(VALU_DEP_1)
	s_cmp_eq_u32 s13, 0
	v_cmp_ne_u32_e64 s13, 0, v2
	s_cselect_b32 s19, -1, 0
	v_and_b32_e32 v2, 16, v30
	s_and_b32 s19, vcc_lo, s19
	s_delay_alu instid0(VALU_DEP_2) | instid1(SALU_CYCLE_1)
	s_and_b32 s19, s13, s19
	s_delay_alu instid0(SALU_CYCLE_1)
	s_and_saveexec_b32 s13, s19
	s_cbranch_execz .LBB4_1172
; %bb.1171:                             ;   in Loop: Header=BB4_1119 Depth=3
	v_mov_b32_e32 v2, 1
	s_waitcnt_vscnt null, 0x0
	buffer_gl1_inv
	buffer_gl0_inv
.LBB4_1172:                             ;   in Loop: Header=BB4_1119 Depth=3
	s_or_b32 exec_lo, exec_lo, s13
.LBB4_1173:                             ;   in Loop: Header=BB4_1119 Depth=3
	s_and_not1_saveexec_b32 s13, s15
	s_cbranch_execz .LBB4_1195
; %bb.1174:                             ;   in Loop: Header=BB4_1119 Depth=3
	s_and_saveexec_b32 s15, s4
	s_delay_alu instid0(SALU_CYCLE_1)
	s_xor_b32 s15, exec_lo, s15
	s_cbranch_execz .LBB4_1192
; %bb.1175:                             ;   in Loop: Header=BB4_1119 Depth=3
	s_and_saveexec_b32 s19, s1
	s_cbranch_execz .LBB4_1191
; %bb.1176:                             ;   in Loop: Header=BB4_1119 Depth=3
	s_mov_b32 s31, exec_lo
	s_mov_b32 s21, exec_lo
	v_mbcnt_lo_u32_b32 v2, s31, 0
	;;#ASMSTART
	s_waitcnt lgkmcnt(0) vmcnt(0)
	;;#ASMEND
	s_delay_alu instid0(VALU_DEP_1)
	v_cmpx_eq_u32_e32 0, v2
	s_cbranch_execz .LBB4_1178
; %bb.1177:                             ;   in Loop: Header=BB4_1119 Depth=3
	s_bcnt1_i32_b32 vcc_lo, s31
	s_delay_alu instid0(SALU_CYCLE_1)
	v_mov_b32_e32 v2, vcc_lo
	ds_add_u64 v0, v[2:3]
	s_cbranch_execnz .LBB4_1803
.LBB4_1178:                             ;   in Loop: Header=BB4_1119 Depth=3
	s_or_b32 exec_lo, exec_lo, s21
	s_cbranch_execnz .LBB4_1779
; %bb.1179:                             ;   in Loop: Header=BB4_1119 Depth=3
	ds_load_b64 v[8:9], v0
	v_add_co_u32 v12, vcc_lo, v12, v86
	v_add_co_ci_u32_e32 v13, vcc_lo, 0, v13, vcc_lo
	s_mov_b32 s21, exec_lo
	s_waitcnt lgkmcnt(0)
	s_delay_alu instid0(VALU_DEP_1)
	v_cmpx_lt_u64_e64 v[8:9], v[12:13]
	s_cbranch_execz .LBB4_1190
; %bb.1180:                             ;   in Loop: Header=BB4_1119 Depth=3
	s_mov_b32 s31, 0
	s_mov_b32 s36, 0
                                        ; implicit-def: $sgpr34
                                        ; implicit-def: $sgpr35
	s_branch .LBB4_1182
.LBB4_1181:                             ;   in Loop: Header=BB4_1182 Depth=4
	s_or_b32 exec_lo, exec_lo, s38
	s_delay_alu instid0(SALU_CYCLE_1) | instskip(NEXT) | instid1(SALU_CYCLE_1)
	s_and_b32 vcc_lo, exec_lo, vcc_lo
	s_or_b32 s31, vcc_lo, s31
	s_and_not1_b32 vcc_lo, s34, exec_lo
	s_and_b32 s34, s35, exec_lo
	s_delay_alu instid0(SALU_CYCLE_1)
	s_or_b32 s34, vcc_lo, s34
	s_and_not1_b32 exec_lo, exec_lo, s31
	s_cbranch_execz .LBB4_1188
.LBB4_1182:                             ;   Parent Loop BB4_55 Depth=1
                                        ;     Parent Loop BB4_910 Depth=2
                                        ;       Parent Loop BB4_1119 Depth=3
                                        ; =>      This Inner Loop Header: Depth=4
	s_add_i32 s36, s36, 1
                                        ; implicit-def: $sgpr38
	s_delay_alu instid0(SALU_CYCLE_1) | instskip(SKIP_1) | instid1(SALU_CYCLE_1)
	s_cmpk_lg_i32 s36, 0x2710
	s_cselect_b32 s37, -1, 0
	s_and_b32 vcc_lo, exec_lo, s37
	s_cbranch_vccz .LBB4_1186
.LBB4_1183:                             ;   in Loop: Header=BB4_1182 Depth=4
	s_and_not1_b32 s35, s35, exec_lo
	s_and_b32 s38, s38, exec_lo
	s_mov_b32 vcc_lo, -1
	s_or_b32 s35, s35, s38
	s_and_saveexec_b32 s38, s37
	s_cbranch_execz .LBB4_1181
; %bb.1184:                             ;   in Loop: Header=BB4_1182 Depth=4
	s_sleep 1
	s_cbranch_execnz .LBB4_1859
; %bb.1185:                             ;   in Loop: Header=BB4_1182 Depth=4
	ds_load_b64 v[8:9], v0
	s_and_not1_b32 s35, s35, exec_lo
	s_waitcnt lgkmcnt(0)
	v_cmp_ge_u64_e32 vcc_lo, v[8:9], v[12:13]
	s_or_not1_b32 vcc_lo, vcc_lo, exec_lo
	s_branch .LBB4_1181
.LBB4_1186:                             ;   in Loop: Header=BB4_1182 Depth=4
	s_cbranch_execnz .LBB4_1871
; %bb.1187:                             ;   in Loop: Header=BB4_1182 Depth=4
	ds_load_b64 v[8:9], v0
	s_and_not1_b32 s37, s37, exec_lo
	s_mov_b32 s36, 0
	s_mov_b32 s38, -1
	s_waitcnt lgkmcnt(0)
	s_waitcnt_vscnt null, 0x0
	flat_load_b32 v2, v[8:9] glc
	s_waitcnt vmcnt(0) lgkmcnt(0)
	buffer_gl1_inv
	buffer_gl0_inv
	v_cmp_eq_u32_e32 vcc_lo, 0, v2
	s_and_b32 vcc_lo, vcc_lo, exec_lo
	s_delay_alu instid0(SALU_CYCLE_1)
	s_or_b32 s37, s37, vcc_lo
	s_branch .LBB4_1183
.LBB4_1188:                             ;   in Loop: Header=BB4_1119 Depth=3
	s_or_b32 exec_lo, exec_lo, s31
	s_and_saveexec_b32 vcc_lo, s34
	s_delay_alu instid0(SALU_CYCLE_1)
	s_xor_b32 vcc_lo, exec_lo, vcc_lo
	s_cbranch_execz .LBB4_1190
; %bb.1189:                             ;   in Loop: Header=BB4_1119 Depth=3
	ds_store_b32 v0, v131
	s_cbranch_execnz .LBB4_1971
.LBB4_1190:                             ;   in Loop: Header=BB4_1119 Depth=3
	s_or_b32 exec_lo, exec_lo, s21
	;;#ASMSTART
	s_wakeup
	;;#ASMEND
.LBB4_1191:                             ;   in Loop: Header=BB4_1119 Depth=3
	s_or_b32 exec_lo, exec_lo, s19
.LBB4_1192:                             ;   in Loop: Header=BB4_1119 Depth=3
	s_and_not1_saveexec_b32 s15, s15
	s_cbranch_execz .LBB4_1194
; %bb.1193:                             ;   in Loop: Header=BB4_1119 Depth=3
	;;#ASMSTART
	s_waitcnt lgkmcnt(0) vmcnt(0)
	;;#ASMEND
	s_waitcnt lgkmcnt(0)
	s_waitcnt_vscnt null, 0x0
	s_barrier
.LBB4_1194:                             ;   in Loop: Header=BB4_1119 Depth=3
	s_or_b32 exec_lo, exec_lo, s15
	v_and_b32_e32 v2, 16, v30
.LBB4_1195:                             ;   in Loop: Header=BB4_1119 Depth=3
	s_or_b32 exec_lo, exec_lo, s13
	s_delay_alu instid0(VALU_DEP_1) | instskip(SKIP_1) | instid1(SALU_CYCLE_1)
	v_cmp_ne_u32_e32 vcc_lo, 0, v2
	s_xor_b32 s13, s10, -1
	s_and_b32 s15, vcc_lo, s13
	s_delay_alu instid0(SALU_CYCLE_1)
	s_and_saveexec_b32 s13, s15
	s_cbranch_execz .LBB4_1197
; %bb.1196:                             ;   in Loop: Header=BB4_1119 Depth=3
	s_waitcnt lgkmcnt(0)
	s_waitcnt_vscnt null, 0x0
	flat_store_b32 v[26:27], v131
.LBB4_1197:                             ;   in Loop: Header=BB4_1119 Depth=3
	s_or_b32 exec_lo, exec_lo, s13
	v_and_b32_e32 v2, 48, v30
	s_mov_b32 s13, exec_lo
	s_delay_alu instid0(VALU_DEP_1)
	v_cmpx_ne_u32_e32 0, v2
	s_cbranch_execz .LBB4_1199
; %bb.1198:                             ;   in Loop: Header=BB4_1119 Depth=3
	v_add_co_u32 v22, vcc_lo, v22, 2
	v_add_co_ci_u32_e32 v23, vcc_lo, 0, v23, vcc_lo
	s_waitcnt lgkmcnt(0)
	s_waitcnt_vscnt null, 0x0
	flat_store_b64 v[20:21], v[22:23]
.LBB4_1199:                             ;   in Loop: Header=BB4_1119 Depth=3
	s_or_b32 exec_lo, exec_lo, s13
	v_add_nc_u32_e32 v52, v50, v52
	s_mov_b32 s13, 0
	s_and_not1_b32 exec_lo, exec_lo, s14
	s_cbranch_execnz .LBB4_1119
; %bb.1200:                             ;   in Loop: Header=BB4_910 Depth=2
	s_or_b32 exec_lo, exec_lo, s14
.LBB4_1201:                             ;   in Loop: Header=BB4_910 Depth=2
	s_delay_alu instid0(SALU_CYCLE_1)
	s_or_b32 exec_lo, exec_lo, s12
	s_add_i32 s12, s30, 1
	s_cmp_eq_u32 s30, s17
	s_cbranch_scc1 .LBB4_1203
; %bb.1202:                             ;   in Loop: Header=BB4_910 Depth=2
	s_mov_b32 s30, s12
	s_branch .LBB4_910
.LBB4_1203:                             ;   in Loop: Header=BB4_55 Depth=1
	s_mov_b32 s12, s18
	v_mul_lo_u32 v8, v36, s23
	v_mul_lo_u32 v2, v37, s12
	v_mad_u64_u32 v[9:10], null, v36, s12, 0
	s_mov_b32 s30, 0
	s_delay_alu instid0(VALU_DEP_1) | instskip(NEXT) | instid1(VALU_DEP_2)
	v_add3_u32 v10, v10, v8, v2
	v_sub_co_u32 v38, vcc_lo, v38, v9
	s_delay_alu instid0(VALU_DEP_2) | instskip(NEXT) | instid1(VALU_DEP_1)
	v_sub_co_ci_u32_e32 v39, vcc_lo, v39, v10, vcc_lo
	v_cmp_lt_i64_e32 vcc_lo, v[36:37], v[38:39]
	v_cndmask_b32_e32 v8, v38, v36, vcc_lo
	s_delay_alu instid0(VALU_DEP_1) | instskip(NEXT) | instid1(VALU_DEP_1)
	v_max_i32_e32 v50, 0, v8
	v_add_nc_u32_e32 v2, 31, v50
	s_delay_alu instid0(VALU_DEP_1) | instskip(NEXT) | instid1(VALU_DEP_1)
	v_lshrrev_b32_e32 v2, 1, v2
	v_and_b32_e32 v11, 0x3ffffff0, v2
	v_cmp_lt_i32_e32 vcc_lo, 0, v8
	v_mov_b32_e32 v2, 0
	v_mov_b32_e32 v8, 0
	s_delay_alu instid0(VALU_DEP_4) | instskip(SKIP_1) | instid1(SALU_CYCLE_1)
	v_max_i32_e32 v51, s16, v11
	s_and_b32 s12, s22, vcc_lo
	s_and_saveexec_b32 s15, s12
	s_cbranch_execz .LBB4_1365
; %bb.1204:                             ;   in Loop: Header=BB4_55 Depth=1
	v_add_co_u32 v8, vcc_lo, v9, v48
	v_add_co_ci_u32_e32 v9, vcc_lo, v10, v49, vcc_lo
	s_mov_b32 s34, 1
	s_mov_b32 s31, -1
	s_delay_alu instid0(VALU_DEP_1)
	v_lshlrev_b64 v[10:11], 3, v[8:9]
	v_mov_b32_e32 v8, 0
.LBB4_1205:                             ;   Parent Loop BB4_55 Depth=1
                                        ; =>  This Loop Header: Depth=2
                                        ;       Child Loop BB4_1214 Depth 3
                                        ;       Child Loop BB4_1241 Depth 3
	;; [unrolled: 1-line block ×9, first 2 shown]
	s_and_saveexec_b32 s12, s0
	s_cbranch_execz .LBB4_1208
; %bb.1206:                             ;   in Loop: Header=BB4_1205 Depth=2
	s_cbranch_execnz .LBB4_1615
; %bb.1207:                             ;   in Loop: Header=BB4_1205 Depth=2
	ds_load_b128 v[52:55], v0
	v_ashrrev_i32_e32 v9, 31, v8
	s_delay_alu instid0(VALU_DEP_1)
	v_lshlrev_b64 v[38:39], 3, v[8:9]
	s_waitcnt lgkmcnt(0)
	v_add_co_u32 v2, vcc_lo, v54, v10
	v_add_co_ci_u32_e32 v9, vcc_lo, v55, v11, vcc_lo
	v_add_co_u32 v48, vcc_lo, v52, v10
	v_add_co_ci_u32_e32 v49, vcc_lo, v53, v11, vcc_lo
	s_delay_alu instid0(VALU_DEP_4) | instskip(NEXT) | instid1(VALU_DEP_4)
	v_add_co_u32 v2, vcc_lo, v2, v38
	v_add_co_ci_u32_e32 v9, vcc_lo, v9, v39, vcc_lo
	v_cmp_ne_u64_e32 vcc_lo, 0, v[54:55]
	v_add_co_u32 v38, s13, v48, v38
	s_delay_alu instid0(VALU_DEP_1) | instskip(NEXT) | instid1(VALU_DEP_4)
	v_add_co_ci_u32_e64 v39, s13, v49, v39, s13
	v_dual_cndmask_b32 v49, 0, v9 :: v_dual_cndmask_b32 v48, 0, v2
	ds_store_b64 v0, v[38:39]
	ds_store_b64 v0, v[48:49]
.LBB4_1208:                             ;   in Loop: Header=BB4_1205 Depth=2
	s_or_b32 exec_lo, exec_lo, s12
	v_and_b32_e32 v2, 4, v30
	s_mov_b32 s13, -1
	s_mov_b32 s12, exec_lo
	s_delay_alu instid0(VALU_DEP_1)
	v_cmpx_ne_u32_e32 0, v2
	s_cbranch_execz .LBB4_1222
; %bb.1209:                             ;   in Loop: Header=BB4_1205 Depth=2
	v_add_co_u32 v38, vcc_lo, v22, 2
	v_add_co_ci_u32_e32 v39, vcc_lo, 0, v23, vcc_lo
	v_mov_b32_e32 v2, 1
	s_mov_b32 s13, exec_lo
	s_delay_alu instid0(VALU_DEP_2)
	v_cmpx_lt_u64_e64 v[28:29], v[38:39]
	s_cbranch_execz .LBB4_1221
; %bb.1210:                             ;   in Loop: Header=BB4_1205 Depth=2
	v_mov_b32_e32 v2, 0
	s_mov_b32 s14, 0
                                        ; implicit-def: $sgpr19
	s_branch .LBB4_1214
.LBB4_1211:                             ;   in Loop: Header=BB4_1214 Depth=3
	s_or_b32 exec_lo, exec_lo, s37
	v_mov_b32_e32 v9, 0
	s_or_not1_b32 s36, s36, exec_lo
.LBB4_1212:                             ;   in Loop: Header=BB4_1214 Depth=3
	s_or_b32 exec_lo, exec_lo, s35
	s_delay_alu instid0(VALU_DEP_1) | instskip(SKIP_2) | instid1(SALU_CYCLE_1)
	v_mov_b32_e32 v2, v9
	s_and_not1_b32 s19, s19, exec_lo
	s_and_b32 vcc_lo, s36, exec_lo
	s_or_b32 s19, s19, vcc_lo
.LBB4_1213:                             ;   in Loop: Header=BB4_1214 Depth=3
	s_or_b32 exec_lo, exec_lo, s21
	s_waitcnt vmcnt(0) lgkmcnt(0)
	v_cmp_ge_u64_e32 vcc_lo, v[28:29], v[38:39]
	s_xor_b32 s21, s19, -1
	s_delay_alu instid0(SALU_CYCLE_1) | instskip(NEXT) | instid1(SALU_CYCLE_1)
	s_or_b32 s21, s21, vcc_lo
	s_and_b32 s21, exec_lo, s21
	s_delay_alu instid0(SALU_CYCLE_1) | instskip(NEXT) | instid1(SALU_CYCLE_1)
	s_or_b32 s14, s21, s14
	s_and_not1_b32 exec_lo, exec_lo, s14
	s_cbranch_execz .LBB4_1220
.LBB4_1214:                             ;   Parent Loop BB4_55 Depth=1
                                        ;     Parent Loop BB4_1205 Depth=2
                                        ; =>    This Inner Loop Header: Depth=3
	s_sleep 1
	flat_load_b64 v[28:29], v[20:21] glc
	v_and_b32_e32 v9, 64, v30
	s_and_not1_b32 s19, s19, exec_lo
	s_mov_b32 s21, exec_lo
	s_delay_alu instid0(VALU_DEP_1)
	v_cmpx_eq_u32_e32 0, v9
	s_cbranch_execz .LBB4_1213
; %bb.1215:                             ;   in Loop: Header=BB4_1214 Depth=3
	v_add_nc_u32_e32 v9, 1, v2
	s_mov_b32 s36, -1
	s_mov_b32 s35, exec_lo
	v_cmpx_lt_i32_e32 0x270e, v2
	s_cbranch_execz .LBB4_1212
; %bb.1216:                             ;   in Loop: Header=BB4_1214 Depth=3
	s_cbranch_execnz .LBB4_1659
; %bb.1217:                             ;   in Loop: Header=BB4_1214 Depth=3
	ds_load_b64 v[48:49], v0
	s_mov_b32 s37, exec_lo
	s_waitcnt vmcnt(0) lgkmcnt(0)
	s_waitcnt_vscnt null, 0x0
	flat_load_b32 v2, v[48:49] glc
	s_waitcnt vmcnt(0) lgkmcnt(0)
	buffer_gl1_inv
	buffer_gl0_inv
	v_cmpx_ne_u32_e32 0, v2
	s_cbranch_execz .LBB4_1211
; %bb.1218:                             ;   in Loop: Header=BB4_1214 Depth=3
	ds_store_b32 v0, v2
	s_cbranch_execnz .LBB4_1737
; %bb.1219:                             ;   in Loop: Header=BB4_1214 Depth=3
	v_or_b32_e32 v30, 64, v30
	s_xor_b32 s36, exec_lo, -1
	s_branch .LBB4_1211
.LBB4_1220:                             ;   in Loop: Header=BB4_1205 Depth=2
	s_or_b32 exec_lo, exec_lo, s14
	v_and_b32_e32 v2, 4, v30
.LBB4_1221:                             ;   in Loop: Header=BB4_1205 Depth=2
	s_or_b32 exec_lo, exec_lo, s13
	s_delay_alu instid0(VALU_DEP_1)
	v_cmp_eq_u32_e32 vcc_lo, 0, v2
	;;#ASMSTART
	s_wakeup
	;;#ASMEND
	s_or_not1_b32 s13, vcc_lo, exec_lo
.LBB4_1222:                             ;   in Loop: Header=BB4_1205 Depth=2
	s_or_b32 exec_lo, exec_lo, s12
	s_xor_b32 s13, s13, -1
	s_delay_alu instid0(SALU_CYCLE_1)
	s_and_saveexec_b32 s12, s13
	s_cbranch_execz .LBB4_1232
; %bb.1223:                             ;   in Loop: Header=BB4_1205 Depth=2
	v_and_b32_e32 v2, 0x100, v30
	s_mov_b32 s13, -1
                                        ; implicit-def: $vgpr38_vgpr39
	s_delay_alu instid0(VALU_DEP_1)
	v_cmp_ne_u32_e32 vcc_lo, 0, v2
	v_and_b32_e32 v2, 7, v22
	s_and_saveexec_b32 s14, vcc_lo
	s_cbranch_execz .LBB4_1227
; %bb.1224:                             ;   in Loop: Header=BB4_1205 Depth=2
	s_delay_alu instid0(VALU_DEP_1)
	v_mad_u64_u32 v[48:49], null, v2, 24, v[6:7]
	s_mov_b32 s19, exec_lo
                                        ; implicit-def: $vgpr38_vgpr39
	flat_load_b32 v9, v[48:49]
	s_waitcnt vmcnt(0) lgkmcnt(0)
	v_cmp_ne_u32_e32 vcc_lo, 1, v9
	v_cmpx_eq_u32_e32 1, v9
	s_cbranch_execz .LBB4_1226
; %bb.1225:                             ;   in Loop: Header=BB4_1205 Depth=2
	flat_load_b32 v38, v[48:49] offset:4 glc
	s_waitcnt vmcnt(0) lgkmcnt(0)
	v_ashrrev_i32_e32 v39, 31, v38
	s_delay_alu instid0(VALU_DEP_1)
	v_lshrrev_b64 v[38:39], 3, v[38:39]
.LBB4_1226:                             ;   in Loop: Header=BB4_1205 Depth=2
	s_or_b32 exec_lo, exec_lo, s19
	s_delay_alu instid0(SALU_CYCLE_1)
	s_or_not1_b32 s13, vcc_lo, exec_lo
.LBB4_1227:                             ;   in Loop: Header=BB4_1205 Depth=2
	s_or_b32 exec_lo, exec_lo, s14
	s_and_saveexec_b32 s14, s13
; %bb.1228:                             ;   in Loop: Header=BB4_1205 Depth=2
	v_mad_i64_i32 v[38:39], null, v2, v84, 0
; %bb.1229:                             ;   in Loop: Header=BB4_1205 Depth=2
	s_or_b32 exec_lo, exec_lo, s14
	s_delay_alu instid0(VALU_DEP_1) | instskip(SKIP_2) | instid1(VALU_DEP_2)
	v_lshlrev_b64 v[38:39], 3, v[38:39]
	v_and_b32_e32 v2, 0x2000, v30
	s_mov_b32 s13, exec_lo
	v_add_co_u32 v38, vcc_lo, v24, v38
	s_delay_alu instid0(VALU_DEP_3)
	v_add_co_ci_u32_e32 v39, vcc_lo, v25, v39, vcc_lo
	ds_store_b64 v0, v[38:39] offset:720
	v_cmpx_ne_u32_e32 0, v2
	s_cbranch_execz .LBB4_1231
; %bb.1230:                             ;   in Loop: Header=BB4_1205 Depth=2
	ds_load_b64 v[38:39], v0 offset:584
	s_waitcnt lgkmcnt(0)
	v_add_co_u32 v38, vcc_lo, v38, 1
	v_add_co_ci_u32_e32 v39, vcc_lo, 0, v39, vcc_lo
	ds_store_b64 v0, v[38:39] offset:584
.LBB4_1231:                             ;   in Loop: Header=BB4_1205 Depth=2
	s_or_b32 exec_lo, exec_lo, s13
	v_add_co_u32 v22, vcc_lo, v22, 2
	v_add_co_ci_u32_e32 v23, vcc_lo, 0, v23, vcc_lo
.LBB4_1232:                             ;   in Loop: Header=BB4_1205 Depth=2
	s_or_b32 exec_lo, exec_lo, s12
	s_and_saveexec_b32 s12, s3
	s_cbranch_execz .LBB4_1254
; %bb.1233:                             ;   in Loop: Header=BB4_1205 Depth=2
	s_and_saveexec_b32 s13, s4
	s_delay_alu instid0(SALU_CYCLE_1)
	s_xor_b32 s13, exec_lo, s13
	s_cbranch_execz .LBB4_1251
; %bb.1234:                             ;   in Loop: Header=BB4_1205 Depth=2
	s_and_saveexec_b32 s14, s1
	s_cbranch_execz .LBB4_1250
; %bb.1235:                             ;   in Loop: Header=BB4_1205 Depth=2
	s_mov_b32 s21, exec_lo
	s_mov_b32 s19, exec_lo
	v_mbcnt_lo_u32_b32 v2, s21, 0
	s_waitcnt lgkmcnt(0)
	s_waitcnt_vscnt null, 0x0
	buffer_gl1_inv
	buffer_gl0_inv
	v_cmpx_eq_u32_e32 0, v2
	s_cbranch_execz .LBB4_1237
; %bb.1236:                             ;   in Loop: Header=BB4_1205 Depth=2
	s_bcnt1_i32_b32 s21, s21
	s_delay_alu instid0(SALU_CYCLE_1)
	v_mov_b32_e32 v2, s21
	ds_add_u64 v0, v[2:3]
	s_cbranch_execnz .LBB4_1773
.LBB4_1237:                             ;   in Loop: Header=BB4_1205 Depth=2
	s_or_b32 exec_lo, exec_lo, s19
	s_cbranch_execnz .LBB4_1745
; %bb.1238:                             ;   in Loop: Header=BB4_1205 Depth=2
	ds_load_b64 v[38:39], v0
	v_add_co_u32 v12, vcc_lo, v12, v86
	v_add_co_ci_u32_e32 v13, vcc_lo, 0, v13, vcc_lo
	s_mov_b32 s19, exec_lo
	s_waitcnt lgkmcnt(0)
	s_delay_alu instid0(VALU_DEP_1)
	v_cmpx_lt_u64_e64 v[38:39], v[12:13]
	s_cbranch_execz .LBB4_1249
; %bb.1239:                             ;   in Loop: Header=BB4_1205 Depth=2
	s_mov_b32 s21, 0
	s_mov_b32 s37, 0
                                        ; implicit-def: $sgpr35
                                        ; implicit-def: $sgpr36
	s_branch .LBB4_1241
.LBB4_1240:                             ;   in Loop: Header=BB4_1241 Depth=3
	s_or_b32 exec_lo, exec_lo, s40
	s_delay_alu instid0(SALU_CYCLE_1) | instskip(NEXT) | instid1(SALU_CYCLE_1)
	s_and_b32 vcc_lo, exec_lo, vcc_lo
	s_or_b32 s21, vcc_lo, s21
	s_and_not1_b32 vcc_lo, s35, exec_lo
	s_and_b32 s35, s36, exec_lo
	s_delay_alu instid0(SALU_CYCLE_1)
	s_or_b32 s35, vcc_lo, s35
	s_and_not1_b32 exec_lo, exec_lo, s21
	s_cbranch_execz .LBB4_1247
.LBB4_1241:                             ;   Parent Loop BB4_55 Depth=1
                                        ;     Parent Loop BB4_1205 Depth=2
                                        ; =>    This Inner Loop Header: Depth=3
	s_add_i32 s37, s37, 1
                                        ; implicit-def: $sgpr40
	s_delay_alu instid0(SALU_CYCLE_1) | instskip(SKIP_1) | instid1(SALU_CYCLE_1)
	s_cmpk_lg_i32 s37, 0x2710
	s_cselect_b32 s38, -1, 0
	s_and_b32 vcc_lo, exec_lo, s38
	s_cbranch_vccz .LBB4_1245
.LBB4_1242:                             ;   in Loop: Header=BB4_1241 Depth=3
	s_and_not1_b32 s36, s36, exec_lo
	s_and_b32 s40, s40, exec_lo
	s_mov_b32 vcc_lo, -1
	s_or_b32 s36, s36, s40
	s_and_saveexec_b32 s40, s38
	s_cbranch_execz .LBB4_1240
; %bb.1243:                             ;   in Loop: Header=BB4_1241 Depth=3
	s_sleep 1
	s_cbranch_execnz .LBB4_1825
; %bb.1244:                             ;   in Loop: Header=BB4_1241 Depth=3
	ds_load_b64 v[38:39], v0
	s_and_not1_b32 s36, s36, exec_lo
	s_waitcnt lgkmcnt(0)
	v_cmp_ge_u64_e32 vcc_lo, v[38:39], v[12:13]
	s_or_not1_b32 vcc_lo, vcc_lo, exec_lo
	s_branch .LBB4_1240
.LBB4_1245:                             ;   in Loop: Header=BB4_1241 Depth=3
	s_cbranch_execnz .LBB4_1839
; %bb.1246:                             ;   in Loop: Header=BB4_1241 Depth=3
	ds_load_b64 v[38:39], v0
	s_and_not1_b32 s38, s38, exec_lo
	s_mov_b32 s37, 0
	s_mov_b32 s40, -1
	s_waitcnt lgkmcnt(0)
	flat_load_b32 v2, v[38:39] glc
	s_waitcnt vmcnt(0) lgkmcnt(0)
	buffer_gl1_inv
	buffer_gl0_inv
	v_cmp_eq_u32_e32 vcc_lo, 0, v2
	s_and_b32 vcc_lo, vcc_lo, exec_lo
	s_delay_alu instid0(SALU_CYCLE_1)
	s_or_b32 s38, s38, vcc_lo
	s_branch .LBB4_1242
.LBB4_1247:                             ;   in Loop: Header=BB4_1205 Depth=2
	s_or_b32 exec_lo, exec_lo, s21
	s_and_saveexec_b32 s21, s35
	s_delay_alu instid0(SALU_CYCLE_1)
	s_xor_b32 s21, exec_lo, s21
	s_cbranch_execz .LBB4_1249
; %bb.1248:                             ;   in Loop: Header=BB4_1205 Depth=2
	ds_store_b32 v0, v131
	s_cbranch_execnz .LBB4_1959
.LBB4_1249:                             ;   in Loop: Header=BB4_1205 Depth=2
	s_or_b32 exec_lo, exec_lo, s19
	;;#ASMSTART
	s_wakeup
	;;#ASMEND
.LBB4_1250:                             ;   in Loop: Header=BB4_1205 Depth=2
	s_or_b32 exec_lo, exec_lo, s14
.LBB4_1251:                             ;   in Loop: Header=BB4_1205 Depth=2
	s_and_not1_saveexec_b32 s13, s13
	s_cbranch_execz .LBB4_1253
; %bb.1252:                             ;   in Loop: Header=BB4_1205 Depth=2
	s_waitcnt lgkmcnt(0)
	s_waitcnt_vscnt null, 0x0
	buffer_gl1_inv
	buffer_gl0_inv
	s_barrier
.LBB4_1253:                             ;   in Loop: Header=BB4_1205 Depth=2
	s_or_b32 exec_lo, exec_lo, s13
.LBB4_1254:                             ;   in Loop: Header=BB4_1205 Depth=2
	s_delay_alu instid0(SALU_CYCLE_1)
	s_or_b32 exec_lo, exec_lo, s12
	s_cbranch_execnz .LBB4_1609
; %bb.1255:                             ;   in Loop: Header=BB4_1205 Depth=2
	ds_load_b32 v38, v0
	v_and_b32_e32 v2, 0x4000, v30
	s_xor_b32 s12, s2, -1
	s_delay_alu instid0(VALU_DEP_1) | instskip(SKIP_1) | instid1(SALU_CYCLE_1)
	v_cmp_ne_u32_e32 vcc_lo, 0, v2
	s_and_b32 s13, s12, vcc_lo
	s_and_saveexec_b32 s12, s13
	s_cbranch_execz .LBB4_1277
; %bb.1256:                             ;   in Loop: Header=BB4_1205 Depth=2
	s_and_saveexec_b32 s13, s4
	s_delay_alu instid0(SALU_CYCLE_1)
	s_xor_b32 s13, exec_lo, s13
	s_cbranch_execz .LBB4_1274
; %bb.1257:                             ;   in Loop: Header=BB4_1205 Depth=2
	s_and_saveexec_b32 s14, s1
	s_cbranch_execz .LBB4_1273
; %bb.1258:                             ;   in Loop: Header=BB4_1205 Depth=2
	s_mov_b32 s21, exec_lo
	s_mov_b32 s19, exec_lo
	v_mbcnt_lo_u32_b32 v2, s21, 0
	s_waitcnt lgkmcnt(0)
	s_waitcnt_vscnt null, 0x0
	buffer_gl1_inv
	buffer_gl0_inv
	v_cmpx_eq_u32_e32 0, v2
	s_cbranch_execz .LBB4_1260
; %bb.1259:                             ;   in Loop: Header=BB4_1205 Depth=2
	s_bcnt1_i32_b32 s21, s21
	s_delay_alu instid0(SALU_CYCLE_1)
	v_mov_b32_e32 v2, s21
	ds_add_u64 v0, v[2:3]
	s_cbranch_execnz .LBB4_1817
.LBB4_1260:                             ;   in Loop: Header=BB4_1205 Depth=2
	s_or_b32 exec_lo, exec_lo, s19
	s_cbranch_execnz .LBB4_1797
; %bb.1261:                             ;   in Loop: Header=BB4_1205 Depth=2
	ds_load_b64 v[48:49], v0
	v_add_co_u32 v12, vcc_lo, v12, v86
	v_add_co_ci_u32_e32 v13, vcc_lo, 0, v13, vcc_lo
	s_mov_b32 s19, exec_lo
	s_waitcnt lgkmcnt(0)
	s_delay_alu instid0(VALU_DEP_1)
	v_cmpx_lt_u64_e64 v[48:49], v[12:13]
	s_cbranch_execz .LBB4_1272
; %bb.1262:                             ;   in Loop: Header=BB4_1205 Depth=2
	s_mov_b32 s21, 0
	s_mov_b32 s37, 0
                                        ; implicit-def: $sgpr35
                                        ; implicit-def: $sgpr36
	s_branch .LBB4_1264
.LBB4_1263:                             ;   in Loop: Header=BB4_1264 Depth=3
	s_or_b32 exec_lo, exec_lo, s40
	s_delay_alu instid0(SALU_CYCLE_1) | instskip(NEXT) | instid1(SALU_CYCLE_1)
	s_and_b32 vcc_lo, exec_lo, vcc_lo
	s_or_b32 s21, vcc_lo, s21
	s_and_not1_b32 vcc_lo, s35, exec_lo
	s_and_b32 s35, s36, exec_lo
	s_delay_alu instid0(SALU_CYCLE_1)
	s_or_b32 s35, vcc_lo, s35
	s_and_not1_b32 exec_lo, exec_lo, s21
	s_cbranch_execz .LBB4_1270
.LBB4_1264:                             ;   Parent Loop BB4_55 Depth=1
                                        ;     Parent Loop BB4_1205 Depth=2
                                        ; =>    This Inner Loop Header: Depth=3
	s_add_i32 s37, s37, 1
                                        ; implicit-def: $sgpr40
	s_delay_alu instid0(SALU_CYCLE_1) | instskip(SKIP_1) | instid1(SALU_CYCLE_1)
	s_cmpk_lg_i32 s37, 0x2710
	s_cselect_b32 s38, -1, 0
	s_and_b32 vcc_lo, exec_lo, s38
	s_cbranch_vccz .LBB4_1268
.LBB4_1265:                             ;   in Loop: Header=BB4_1264 Depth=3
	s_and_not1_b32 s36, s36, exec_lo
	s_and_b32 s40, s40, exec_lo
	s_mov_b32 vcc_lo, -1
	s_or_b32 s36, s36, s40
	s_and_saveexec_b32 s40, s38
	s_cbranch_execz .LBB4_1263
; %bb.1266:                             ;   in Loop: Header=BB4_1264 Depth=3
	s_sleep 1
	s_cbranch_execnz .LBB4_1875
; %bb.1267:                             ;   in Loop: Header=BB4_1264 Depth=3
	ds_load_b64 v[48:49], v0
	s_and_not1_b32 s36, s36, exec_lo
	s_waitcnt lgkmcnt(0)
	v_cmp_ge_u64_e32 vcc_lo, v[48:49], v[12:13]
	s_or_not1_b32 vcc_lo, vcc_lo, exec_lo
	s_branch .LBB4_1263
.LBB4_1268:                             ;   in Loop: Header=BB4_1264 Depth=3
	s_cbranch_execnz .LBB4_1887
; %bb.1269:                             ;   in Loop: Header=BB4_1264 Depth=3
	ds_load_b64 v[48:49], v0
	s_and_not1_b32 s38, s38, exec_lo
	s_mov_b32 s37, 0
	s_mov_b32 s40, -1
	s_waitcnt lgkmcnt(0)
	flat_load_b32 v2, v[48:49] glc
	s_waitcnt vmcnt(0) lgkmcnt(0)
	buffer_gl1_inv
	buffer_gl0_inv
	v_cmp_eq_u32_e32 vcc_lo, 0, v2
	s_and_b32 vcc_lo, vcc_lo, exec_lo
	s_delay_alu instid0(SALU_CYCLE_1)
	s_or_b32 s38, s38, vcc_lo
	s_branch .LBB4_1265
.LBB4_1270:                             ;   in Loop: Header=BB4_1205 Depth=2
	s_or_b32 exec_lo, exec_lo, s21
	s_and_saveexec_b32 s21, s35
	s_delay_alu instid0(SALU_CYCLE_1)
	s_xor_b32 s21, exec_lo, s21
	s_cbranch_execz .LBB4_1272
; %bb.1271:                             ;   in Loop: Header=BB4_1205 Depth=2
	ds_store_b32 v0, v131
	s_cbranch_execnz .LBB4_1973
.LBB4_1272:                             ;   in Loop: Header=BB4_1205 Depth=2
	s_or_b32 exec_lo, exec_lo, s19
	;;#ASMSTART
	s_wakeup
	;;#ASMEND
.LBB4_1273:                             ;   in Loop: Header=BB4_1205 Depth=2
	s_or_b32 exec_lo, exec_lo, s14
.LBB4_1274:                             ;   in Loop: Header=BB4_1205 Depth=2
	s_and_not1_saveexec_b32 s13, s13
	s_cbranch_execz .LBB4_1276
; %bb.1275:                             ;   in Loop: Header=BB4_1205 Depth=2
	s_waitcnt lgkmcnt(0)
	s_waitcnt_vscnt null, 0x0
	buffer_gl1_inv
	buffer_gl0_inv
	s_barrier
.LBB4_1276:                             ;   in Loop: Header=BB4_1205 Depth=2
	s_or_b32 exec_lo, exec_lo, s13
.LBB4_1277:                             ;   in Loop: Header=BB4_1205 Depth=2
	s_delay_alu instid0(SALU_CYCLE_1)
	s_or_b32 exec_lo, exec_lo, s12
	s_cbranch_execnz .LBB4_1667
; %bb.1278:                             ;   in Loop: Header=BB4_1205 Depth=2
	ds_load_b64 v[48:49], v0
	v_sub_nc_u32_e32 v2, v50, v8
	v_mov_b32_e32 v9, 0
	s_delay_alu instid0(VALU_DEP_2) | instskip(SKIP_3) | instid1(SALU_CYCLE_1)
	v_min_i32_e32 v51, v51, v2
	s_waitcnt lgkmcnt(0)
	v_cmp_eq_u64_e32 vcc_lo, 0, v[48:49]
	s_or_b32 s12, vcc_lo, vcc_lo
	s_and_b32 vcc_lo, exec_lo, s12
	s_cbranch_vccnz .LBB4_1313
; %bb.1279:                             ;   in Loop: Header=BB4_1205 Depth=2
	s_mov_b32 s12, -1
	s_and_saveexec_b32 s13, s6
	s_cbranch_execz .LBB4_1281
; %bb.1280:                             ;   in Loop: Header=BB4_1205 Depth=2
	ds_load_b32 v2, v0 offset:720
	s_waitcnt lgkmcnt(0)
	v_and_b32_e32 v2, 15, v2
	s_delay_alu instid0(VALU_DEP_1)
	v_cmp_eq_u32_e32 vcc_lo, 0, v2
	s_or_not1_b32 s12, vcc_lo, exec_lo
.LBB4_1281:                             ;   in Loop: Header=BB4_1205 Depth=2
	s_or_b32 exec_lo, exec_lo, s13
	s_and_saveexec_b32 s13, s5
	s_cbranch_execz .LBB4_1283
; %bb.1282:                             ;   in Loop: Header=BB4_1205 Depth=2
	ds_load_b32 v2, v0 offset:784
	s_waitcnt lgkmcnt(0)
	v_and_b32_e32 v2, 15, v2
	s_delay_alu instid0(VALU_DEP_1) | instskip(SKIP_3) | instid1(SALU_CYCLE_1)
	v_cmp_eq_u32_e32 vcc_lo, 0, v2
	s_and_b32 s14, s12, vcc_lo
	s_and_not1_b32 s12, s12, exec_lo
	s_and_b32 s14, s14, exec_lo
	s_or_b32 s12, s12, s14
.LBB4_1283:                             ;   in Loop: Header=BB4_1205 Depth=2
	s_or_b32 exec_lo, exec_lo, s13
	v_cmp_eq_u32_e32 vcc_lo, 0, v38
	s_xor_b32 s12, s12, -1
	s_mov_b32 s13, -1
	v_cndmask_b32_e64 v2, 0, 1, s12
	;;#ASMSTART
	;;#ASMEND
	v_dual_cndmask_b32 v9, 0, v51 :: v_dual_mov_b32 v48, 0
	s_delay_alu instid0(VALU_DEP_2) | instskip(NEXT) | instid1(VALU_DEP_2)
	v_cmp_ne_u32_e32 vcc_lo, 0, v2
	v_lshlrev_b32_e32 v2, 3, v9
	s_cbranch_vccz .LBB4_1285
; %bb.1284:                             ;   in Loop: Header=BB4_1205 Depth=2
	v_dual_mov_b32 v49, v0 :: v_dual_mov_b32 v64, v87
	s_branch .LBB4_1300
.LBB4_1285:                             ;   in Loop: Header=BB4_1205 Depth=2
	s_delay_alu instid0(VALU_DEP_1) | instskip(SKIP_1) | instid1(VALU_DEP_1)
	v_ashrrev_i32_e32 v38, 31, v2
	s_mov_b32 s12, exec_lo
	v_lshrrev_b32_e32 v38, 21, v38
	s_delay_alu instid0(VALU_DEP_1) | instskip(NEXT) | instid1(VALU_DEP_1)
	v_add_nc_u32_e32 v38, v2, v38
	v_ashrrev_i32_e32 v52, 11, v38
	s_delay_alu instid0(VALU_DEP_1) | instskip(NEXT) | instid1(VALU_DEP_1)
	v_sub_nc_u32_e32 v53, v52, v87
	v_cmpx_lt_i32_e32 0, v53
	s_cbranch_execz .LBB4_1290
; %bb.1286:                             ;   in Loop: Header=BB4_1205 Depth=2
	s_cbranch_execnz .LBB4_1843
; %bb.1287:                             ;   in Loop: Header=BB4_1205 Depth=2
	ds_load_b64 v[38:39], v0
	s_mov_b32 s14, 0
	s_waitcnt lgkmcnt(0)
	v_dual_mov_b32 v49, v39 :: v_dual_mov_b32 v48, v38
	s_set_inst_prefetch_distance 0x1
.LBB4_1288:                             ;   Parent Loop BB4_55 Depth=1
                                        ;     Parent Loop BB4_1205 Depth=2
                                        ; =>    This Inner Loop Header: Depth=3
	s_delay_alu instid0(VALU_DEP_1) | instskip(NEXT) | instid1(VALU_DEP_2)
	v_add_co_u32 v54, vcc_lo, v97, v48
	v_add_co_ci_u32_e32 v55, vcc_lo, v99, v49, vcc_lo
	v_sub_nc_u32_e32 v53, v53, v86
	s_clause 0x3
	global_load_b128 v[64:67], v[54:55], off slc dlc
	global_load_b128 v[80:83], v[54:55], off offset:512 slc dlc
	global_load_b128 v[132:135], v[54:55], off offset:1024 slc dlc
	;; [unrolled: 1-line block ×3, first 2 shown]
	v_add_co_u32 v54, vcc_lo, v97, v38
	v_add_co_ci_u32_e32 v55, vcc_lo, v99, v39, vcc_lo
	v_add_co_u32 v48, vcc_lo, v48, v102
	v_add_co_ci_u32_e32 v49, vcc_lo, v49, v103, vcc_lo
	v_add_co_u32 v38, vcc_lo, v38, v102
	v_cmp_gt_i32_e64 s13, 1, v53
	v_add_co_ci_u32_e32 v39, vcc_lo, v39, v103, vcc_lo
	s_waitcnt vmcnt(3)
	global_store_b128 v[54:55], v[64:67], off glc slc dlc
	s_waitcnt vmcnt(2)
	global_store_b128 v[54:55], v[80:83], off offset:512 glc slc dlc
	s_waitcnt vmcnt(1)
	global_store_b128 v[54:55], v[132:135], off offset:1024 glc slc dlc
	s_waitcnt vmcnt(0)
	global_store_b128 v[54:55], v[144:147], off offset:1536 glc slc dlc
	s_or_b32 s14, s13, s14
	s_delay_alu instid0(SALU_CYCLE_1)
	s_and_not1_b32 exec_lo, exec_lo, s14
	s_cbranch_execnz .LBB4_1288
; %bb.1289:                             ;   in Loop: Header=BB4_1205 Depth=2
	s_set_inst_prefetch_distance 0x2
	s_or_b32 exec_lo, exec_lo, s14
.LBB4_1290:                             ;   in Loop: Header=BB4_1205 Depth=2
	s_delay_alu instid0(SALU_CYCLE_1) | instskip(SKIP_4) | instid1(VALU_DEP_2)
	s_or_b32 exec_lo, exec_lo, s12
	v_lshlrev_b32_e32 v52, 11, v52
	v_mov_b32_e32 v48, 0
	s_mov_b32 s13, 0
	s_mov_b32 s12, exec_lo
                                        ; implicit-def: $vgpr49
                                        ; implicit-def: $vgpr64
	v_cmpx_ne_u32_e64 v2, v52
	s_cbranch_execz .LBB4_1299
; %bb.1291:                             ;   in Loop: Header=BB4_1205 Depth=2
	v_lshlrev_b32_e32 v38, 5, v53
	v_sub_nc_u32_e32 v48, v2, v52
	s_mov_b32 s19, exec_lo
	s_delay_alu instid0(VALU_DEP_2) | instskip(NEXT) | instid1(VALU_DEP_2)
	v_sub_nc_u32_e32 v38, v96, v38
	v_ashrrev_i32_e32 v49, 31, v48
	s_delay_alu instid0(VALU_DEP_2) | instskip(NEXT) | instid1(VALU_DEP_2)
	v_ashrrev_i32_e32 v39, 31, v38
	v_lshrrev_b32_e32 v49, 23, v49
	s_delay_alu instid0(VALU_DEP_2) | instskip(NEXT) | instid1(VALU_DEP_2)
	v_lshrrev_b32_e32 v39, 27, v39
	v_add_nc_u32_e32 v49, v48, v49
	s_delay_alu instid0(VALU_DEP_2) | instskip(NEXT) | instid1(VALU_DEP_2)
	v_add_nc_u32_e32 v39, v38, v39
	v_ashrrev_i32_e32 v64, 9, v49
	s_delay_alu instid0(VALU_DEP_2) | instskip(NEXT) | instid1(VALU_DEP_1)
	v_and_b32_e32 v53, 0xffffffe0, v39
	v_sub_nc_u32_e32 v54, v38, v53
	v_and_b32_e32 v53, 0xfffffe00, v49
	v_ashrrev_i32_e32 v38, 5, v39
	s_delay_alu instid0(VALU_DEP_3) | instskip(NEXT) | instid1(VALU_DEP_3)
	v_lshlrev_b32_e32 v39, 4, v54
	v_sub_nc_u32_e32 v55, v48, v53
	s_delay_alu instid0(VALU_DEP_2) | instskip(NEXT) | instid1(VALU_DEP_2)
	v_lshl_add_u32 v49, v38, 9, v39
	v_cmp_lt_i32_e32 vcc_lo, 15, v55
	s_delay_alu instid0(VALU_DEP_2) | instskip(SKIP_1) | instid1(VALU_DEP_1)
	v_sub_nc_u32_e32 v48, v48, v49
	v_add_co_ci_u32_e64 v39, s13, 0, v64, vcc_lo
	v_sub_nc_u32_e32 v65, v39, v38
	s_delay_alu instid0(VALU_DEP_3)
	v_cmpx_lt_i32_e32 15, v48
	s_cbranch_execz .LBB4_1296
; %bb.1292:                             ;   in Loop: Header=BB4_1205 Depth=2
	s_cbranch_execnz .LBB4_1899
; %bb.1293:                             ;   in Loop: Header=BB4_1205 Depth=2
	ds_load_b64 v[38:39], v0
	v_add_nc_u32_e32 v49, v49, v52
	s_mov_b32 s21, 0
	s_delay_alu instid0(VALU_DEP_1)
	v_ashrrev_i32_e32 v64, 31, v49
.LBB4_1294:                             ;   Parent Loop BB4_55 Depth=1
                                        ;     Parent Loop BB4_1205 Depth=2
                                        ; =>    This Inner Loop Header: Depth=3
	s_waitcnt lgkmcnt(0)
	v_add_co_u32 v80, s13, v38, v49
	s_delay_alu instid0(VALU_DEP_1)
	v_add_co_ci_u32_e64 v81, s13, v39, v64, s13
	v_sub_nc_u32_e32 v48, v48, v98
	v_add_co_u32 v49, s14, v49, v114
	global_load_b128 v[66:69], v[80:81], off slc dlc
	v_sub_nc_u32_e32 v65, v65, v86
	v_cmp_gt_i32_e64 s13, 16, v48
	v_add_co_ci_u32_e64 v64, s14, v64, v115, s14
	s_delay_alu instid0(VALU_DEP_2)
	s_or_b32 s21, s13, s21
	s_waitcnt vmcnt(0)
	global_store_b128 v[80:81], v[66:69], off glc slc dlc
	s_and_not1_b32 exec_lo, exec_lo, s21
	s_cbranch_execnz .LBB4_1294
; %bb.1295:                             ;   in Loop: Header=BB4_1205 Depth=2
	s_or_b32 exec_lo, exec_lo, s21
.LBB4_1296:                             ;   in Loop: Header=BB4_1205 Depth=2
	s_delay_alu instid0(SALU_CYCLE_1) | instskip(SKIP_4) | instid1(VALU_DEP_2)
	s_or_b32 exec_lo, exec_lo, s19
	v_and_b32_e32 v38, 8, v2
	v_mov_b32_e32 v48, 0
	s_mov_b32 s14, 0
	s_mov_b32 s19, exec_lo
                                        ; implicit-def: $vgpr49
                                        ; implicit-def: $vgpr64
	v_cndmask_b32_e32 v2, v55, v38, vcc_lo
	s_delay_alu instid0(VALU_DEP_1)
	v_cmpx_ne_u32_e32 0, v2
; %bb.1297:                             ;   in Loop: Header=BB4_1205 Depth=2
	v_cmp_lt_i32_e64 s13, 0, v65
	v_sub_nc_u32_e32 v38, v55, v38
	s_mov_b32 s14, exec_lo
	s_delay_alu instid0(VALU_DEP_2) | instskip(NEXT) | instid1(VALU_DEP_1)
	v_cndmask_b32_e64 v39, 0, v86, s13
	v_sub_nc_u32_e32 v39, v39, v65
	s_delay_alu instid0(VALU_DEP_1) | instskip(NEXT) | instid1(VALU_DEP_1)
	v_lshl_add_u32 v49, v39, 5, v54
	v_ashrrev_i32_e32 v39, 31, v49
	s_delay_alu instid0(VALU_DEP_1) | instskip(NEXT) | instid1(VALU_DEP_1)
	v_lshrrev_b32_e32 v39, 27, v39
	v_dual_cndmask_b32 v38, 0, v38 :: v_dual_add_nc_u32 v39, v49, v39
	s_delay_alu instid0(VALU_DEP_1) | instskip(NEXT) | instid1(VALU_DEP_2)
	v_add3_u32 v48, v53, v52, v38
	v_ashrrev_i32_e32 v64, 5, v39
; %bb.1298:                             ;   in Loop: Header=BB4_1205 Depth=2
	s_or_b32 exec_lo, exec_lo, s19
	s_delay_alu instid0(SALU_CYCLE_1)
	s_and_b32 s13, s14, exec_lo
.LBB4_1299:                             ;   in Loop: Header=BB4_1205 Depth=2
	s_or_b32 exec_lo, exec_lo, s12
.LBB4_1300:                             ;   in Loop: Header=BB4_1205 Depth=2
	s_and_saveexec_b32 s12, s13
	s_cbranch_execz .LBB4_1312
; %bb.1301:                             ;   in Loop: Header=BB4_1205 Depth=2
	v_ashrrev_i32_e32 v38, 31, v2
	s_mov_b32 s14, exec_lo
	s_delay_alu instid0(VALU_DEP_1) | instskip(NEXT) | instid1(VALU_DEP_1)
	v_lshrrev_b32_e32 v38, 23, v38
	v_add_nc_u32_e32 v38, v2, v38
	s_delay_alu instid0(VALU_DEP_1) | instskip(NEXT) | instid1(VALU_DEP_1)
	v_ashrrev_i32_e32 v53, 9, v38
	v_sub_nc_u32_e32 v52, v53, v64
	s_delay_alu instid0(VALU_DEP_1)
	v_cmpx_lt_i32_e32 0, v52
	s_cbranch_execz .LBB4_1306
; %bb.1302:                             ;   in Loop: Header=BB4_1205 Depth=2
	s_cbranch_execnz .LBB4_1837
; %bb.1303:                             ;   in Loop: Header=BB4_1205 Depth=2
	v_ashrrev_i32_e32 v38, 31, v49
	v_lshlrev_b32_e32 v55, 9, v64
	s_mov_b32 s19, 0
	s_delay_alu instid0(VALU_DEP_2) | instskip(NEXT) | instid1(VALU_DEP_1)
	v_lshrrev_b32_e32 v38, 27, v38
	v_add_nc_u32_e32 v38, v49, v38
	s_delay_alu instid0(VALU_DEP_1) | instskip(NEXT) | instid1(VALU_DEP_1)
	v_and_b32_e32 v38, 0x1fffffe0, v38
	v_sub_nc_u32_e32 v54, v49, v38
	ds_load_b64 v[38:39], v0
	v_lshlrev_b32_e32 v54, 3, v54
	s_delay_alu instid0(VALU_DEP_1) | instskip(NEXT) | instid1(VALU_DEP_1)
	v_add3_u32 v54, v54, v48, v55
	v_ashrrev_i32_e32 v55, 31, v54
.LBB4_1304:                             ;   Parent Loop BB4_55 Depth=1
                                        ;     Parent Loop BB4_1205 Depth=2
                                        ; =>    This Inner Loop Header: Depth=3
	s_waitcnt lgkmcnt(0)
	v_add_co_u32 v64, vcc_lo, v38, v54
	s_delay_alu instid0(VALU_DEP_2)
	v_add_co_ci_u32_e32 v65, vcc_lo, v39, v55, vcc_lo
	v_sub_nc_u32_e32 v52, v52, v86
	v_add_co_u32 v54, s13, v54, v114
	s_clause 0x1
	flat_load_b64 v[66:67], v[64:65] slc dlc
	flat_load_b64 v[68:69], v[64:65] offset:256 slc dlc
	v_add_co_ci_u32_e64 v55, s13, v55, v115, s13
	v_cmp_gt_i32_e32 vcc_lo, 1, v52
	s_waitcnt vmcnt(1) lgkmcnt(1)
	flat_store_b64 v[64:65], v[66:67] glc slc dlc
	s_waitcnt vmcnt(0) lgkmcnt(1)
	flat_store_b64 v[64:65], v[68:69] offset:256 glc slc dlc
	s_or_b32 s19, vcc_lo, s19
	s_delay_alu instid0(SALU_CYCLE_1)
	s_and_not1_b32 exec_lo, exec_lo, s19
	s_cbranch_execnz .LBB4_1304
; %bb.1305:                             ;   in Loop: Header=BB4_1205 Depth=2
	s_or_b32 exec_lo, exec_lo, s19
.LBB4_1306:                             ;   in Loop: Header=BB4_1205 Depth=2
	s_delay_alu instid0(SALU_CYCLE_1) | instskip(SKIP_2) | instid1(VALU_DEP_1)
	s_or_b32 exec_lo, exec_lo, s14
	v_lshlrev_b32_e32 v38, 9, v53
	s_mov_b32 s14, exec_lo
	v_cmpx_ne_u32_e64 v2, v38
	s_cbranch_execz .LBB4_1311
; %bb.1307:                             ;   in Loop: Header=BB4_1205 Depth=2
	v_ashrrev_i32_e32 v39, 31, v49
	s_delay_alu instid0(VALU_DEP_1) | instskip(NEXT) | instid1(VALU_DEP_1)
	v_lshrrev_b32_e32 v39, 27, v39
	v_add_nc_u32_e32 v39, v49, v39
	s_delay_alu instid0(VALU_DEP_1) | instskip(NEXT) | instid1(VALU_DEP_1)
	v_and_b32_e32 v39, 0xffffffe0, v39
	v_sub_nc_u32_e32 v39, v49, v39
	v_lshlrev_b32_e32 v49, 5, v52
	s_delay_alu instid0(VALU_DEP_1) | instskip(NEXT) | instid1(VALU_DEP_1)
	v_sub_nc_u32_e32 v39, v39, v49
	v_ashrrev_i32_e32 v49, 31, v39
	s_delay_alu instid0(VALU_DEP_1) | instskip(NEXT) | instid1(VALU_DEP_1)
	v_lshrrev_b32_e32 v49, 27, v49
	v_add_nc_u32_e32 v49, v39, v49
	s_delay_alu instid0(VALU_DEP_1) | instskip(SKIP_1) | instid1(VALU_DEP_2)
	v_and_b32_e32 v52, 0x1fffffe0, v49
	v_lshlrev_b32_e32 v49, 3, v49
	v_sub_nc_u32_e32 v39, v39, v52
	s_delay_alu instid0(VALU_DEP_2) | instskip(NEXT) | instid1(VALU_DEP_2)
	v_and_b32_e32 v49, 0xffffff00, v49
	v_lshlrev_b32_e32 v39, 3, v39
	s_delay_alu instid0(VALU_DEP_1) | instskip(NEXT) | instid1(VALU_DEP_1)
	v_add3_u32 v49, v49, v39, v38
	v_sub_nc_u32_e32 v2, v2, v49
	s_delay_alu instid0(VALU_DEP_1)
	v_cmp_lt_i32_e32 vcc_lo, 7, v2
	s_and_b32 exec_lo, exec_lo, vcc_lo
	s_cbranch_execz .LBB4_1311
; %bb.1308:                             ;   in Loop: Header=BB4_1205 Depth=2
	s_cbranch_execnz .LBB4_1893
; %bb.1309:                             ;   in Loop: Header=BB4_1205 Depth=2
	ds_load_b64 v[38:39], v0
	v_add_nc_u32_e32 v48, v49, v48
	s_mov_b32 s19, 0
	s_delay_alu instid0(VALU_DEP_1)
	v_ashrrev_i32_e32 v49, 31, v48
.LBB4_1310:                             ;   Parent Loop BB4_55 Depth=1
                                        ;     Parent Loop BB4_1205 Depth=2
                                        ; =>    This Inner Loop Header: Depth=3
	s_waitcnt lgkmcnt(0)
	v_add_co_u32 v52, vcc_lo, v38, v48
	s_delay_alu instid0(VALU_DEP_2)
	v_add_co_ci_u32_e32 v53, vcc_lo, v39, v49, vcc_lo
	v_sub_nc_u32_e32 v2, v2, v101
	v_add_co_u32 v48, s13, v48, v117
	flat_load_b64 v[54:55], v[52:53] slc dlc
	v_add_co_ci_u32_e64 v49, s13, v49, v118, s13
	v_cmp_gt_i32_e32 vcc_lo, 8, v2
	s_or_b32 s19, vcc_lo, s19
	s_waitcnt vmcnt(0) lgkmcnt(0)
	flat_store_b64 v[52:53], v[54:55] glc slc dlc
	s_and_not1_b32 exec_lo, exec_lo, s19
	s_cbranch_execnz .LBB4_1310
.LBB4_1311:                             ;   in Loop: Header=BB4_1205 Depth=2
	s_or_b32 exec_lo, exec_lo, s14
.LBB4_1312:                             ;   in Loop: Header=BB4_1205 Depth=2
	s_delay_alu instid0(SALU_CYCLE_1)
	s_or_b32 exec_lo, exec_lo, s12
.LBB4_1313:                             ;   in Loop: Header=BB4_1205 Depth=2
	s_and_saveexec_b32 s12, s3
	s_cbranch_execz .LBB4_1335
; %bb.1314:                             ;   in Loop: Header=BB4_1205 Depth=2
	s_and_saveexec_b32 s13, s4
	s_delay_alu instid0(SALU_CYCLE_1)
	s_xor_b32 s13, exec_lo, s13
	s_cbranch_execz .LBB4_1332
; %bb.1315:                             ;   in Loop: Header=BB4_1205 Depth=2
	s_and_saveexec_b32 s14, s1
	s_cbranch_execz .LBB4_1331
; %bb.1316:                             ;   in Loop: Header=BB4_1205 Depth=2
	s_mov_b32 s21, exec_lo
	s_mov_b32 s19, exec_lo
	v_mbcnt_lo_u32_b32 v2, s21, 0
	s_waitcnt lgkmcnt(0)
	s_waitcnt_vscnt null, 0x0
	buffer_gl1_inv
	buffer_gl0_inv
	v_cmpx_eq_u32_e32 0, v2
	s_cbranch_execz .LBB4_1318
; %bb.1317:                             ;   in Loop: Header=BB4_1205 Depth=2
	s_bcnt1_i32_b32 s21, s21
	s_delay_alu instid0(SALU_CYCLE_1)
	v_mov_b32_e32 v2, s21
	ds_add_u64 v0, v[2:3]
	s_cbranch_execnz .LBB4_1879
.LBB4_1318:                             ;   in Loop: Header=BB4_1205 Depth=2
	s_or_b32 exec_lo, exec_lo, s19
	s_cbranch_execnz .LBB4_1855
; %bb.1319:                             ;   in Loop: Header=BB4_1205 Depth=2
	ds_load_b64 v[38:39], v0
	v_add_co_u32 v12, vcc_lo, v12, v86
	v_add_co_ci_u32_e32 v13, vcc_lo, 0, v13, vcc_lo
	s_mov_b32 s19, exec_lo
	s_waitcnt lgkmcnt(0)
	s_delay_alu instid0(VALU_DEP_1)
	v_cmpx_lt_u64_e64 v[38:39], v[12:13]
	s_cbranch_execz .LBB4_1330
; %bb.1320:                             ;   in Loop: Header=BB4_1205 Depth=2
	s_mov_b32 s21, 0
	s_mov_b32 s37, 0
                                        ; implicit-def: $sgpr35
                                        ; implicit-def: $sgpr36
	s_branch .LBB4_1322
.LBB4_1321:                             ;   in Loop: Header=BB4_1322 Depth=3
	s_or_b32 exec_lo, exec_lo, s40
	s_delay_alu instid0(SALU_CYCLE_1) | instskip(NEXT) | instid1(SALU_CYCLE_1)
	s_and_b32 vcc_lo, exec_lo, vcc_lo
	s_or_b32 s21, vcc_lo, s21
	s_and_not1_b32 vcc_lo, s35, exec_lo
	s_and_b32 s35, s36, exec_lo
	s_delay_alu instid0(SALU_CYCLE_1)
	s_or_b32 s35, vcc_lo, s35
	s_and_not1_b32 exec_lo, exec_lo, s21
	s_cbranch_execz .LBB4_1328
.LBB4_1322:                             ;   Parent Loop BB4_55 Depth=1
                                        ;     Parent Loop BB4_1205 Depth=2
                                        ; =>    This Inner Loop Header: Depth=3
	s_add_i32 s37, s37, 1
                                        ; implicit-def: $sgpr40
	s_delay_alu instid0(SALU_CYCLE_1) | instskip(SKIP_1) | instid1(SALU_CYCLE_1)
	s_cmpk_lg_i32 s37, 0x2710
	s_cselect_b32 s38, -1, 0
	s_and_b32 vcc_lo, exec_lo, s38
	s_cbranch_vccz .LBB4_1326
.LBB4_1323:                             ;   in Loop: Header=BB4_1322 Depth=3
	s_and_not1_b32 s36, s36, exec_lo
	s_and_b32 s40, s40, exec_lo
	s_mov_b32 vcc_lo, -1
	s_or_b32 s36, s36, s40
	s_and_saveexec_b32 s40, s38
	s_cbranch_execz .LBB4_1321
; %bb.1324:                             ;   in Loop: Header=BB4_1322 Depth=3
	s_sleep 1
	s_cbranch_execnz .LBB4_1913
; %bb.1325:                             ;   in Loop: Header=BB4_1322 Depth=3
	ds_load_b64 v[38:39], v0
	s_and_not1_b32 s36, s36, exec_lo
	s_waitcnt lgkmcnt(0)
	v_cmp_ge_u64_e32 vcc_lo, v[38:39], v[12:13]
	s_or_not1_b32 vcc_lo, vcc_lo, exec_lo
	s_branch .LBB4_1321
.LBB4_1326:                             ;   in Loop: Header=BB4_1322 Depth=3
	s_cbranch_execnz .LBB4_1923
; %bb.1327:                             ;   in Loop: Header=BB4_1322 Depth=3
	ds_load_b64 v[38:39], v0
	s_and_not1_b32 s38, s38, exec_lo
	s_mov_b32 s37, 0
	s_mov_b32 s40, -1
	s_waitcnt lgkmcnt(0)
	flat_load_b32 v2, v[38:39] glc
	s_waitcnt vmcnt(0) lgkmcnt(0)
	buffer_gl1_inv
	buffer_gl0_inv
	v_cmp_eq_u32_e32 vcc_lo, 0, v2
	s_and_b32 vcc_lo, vcc_lo, exec_lo
	s_delay_alu instid0(SALU_CYCLE_1)
	s_or_b32 s38, s38, vcc_lo
	s_branch .LBB4_1323
.LBB4_1328:                             ;   in Loop: Header=BB4_1205 Depth=2
	s_or_b32 exec_lo, exec_lo, s21
	s_and_saveexec_b32 s21, s35
	s_delay_alu instid0(SALU_CYCLE_1)
	s_xor_b32 s21, exec_lo, s21
	s_cbranch_execz .LBB4_1330
; %bb.1329:                             ;   in Loop: Header=BB4_1205 Depth=2
	ds_store_b32 v0, v131
	s_cbranch_execnz .LBB4_1977
.LBB4_1330:                             ;   in Loop: Header=BB4_1205 Depth=2
	s_or_b32 exec_lo, exec_lo, s19
	;;#ASMSTART
	s_wakeup
	;;#ASMEND
.LBB4_1331:                             ;   in Loop: Header=BB4_1205 Depth=2
	s_or_b32 exec_lo, exec_lo, s14
.LBB4_1332:                             ;   in Loop: Header=BB4_1205 Depth=2
	s_and_not1_saveexec_b32 s13, s13
	s_cbranch_execz .LBB4_1334
; %bb.1333:                             ;   in Loop: Header=BB4_1205 Depth=2
	s_waitcnt lgkmcnt(0)
	s_waitcnt_vscnt null, 0x0
	buffer_gl1_inv
	buffer_gl0_inv
	s_barrier
.LBB4_1334:                             ;   in Loop: Header=BB4_1205 Depth=2
	s_or_b32 exec_lo, exec_lo, s13
.LBB4_1335:                             ;   in Loop: Header=BB4_1205 Depth=2
	s_delay_alu instid0(SALU_CYCLE_1) | instskip(SKIP_1) | instid1(SALU_CYCLE_1)
	s_or_b32 exec_lo, exec_lo, s12
	s_and_saveexec_b32 s12, s7
	s_xor_b32 s12, exec_lo, s12
	s_cbranch_execz .LBB4_1339
; %bb.1336:                             ;   in Loop: Header=BB4_1205 Depth=2
	v_and_b32_e32 v2, 16, v30
	v_cmp_lt_i32_e32 vcc_lo, 0, v9
	s_delay_alu instid0(VALU_DEP_2) | instskip(NEXT) | instid1(VALU_DEP_1)
	v_cmp_ne_u32_e64 s13, 0, v2
	s_and_b32 s14, s13, vcc_lo
	s_delay_alu instid0(SALU_CYCLE_1)
	s_and_saveexec_b32 s13, s14
	s_cbranch_execz .LBB4_1338
; %bb.1337:                             ;   in Loop: Header=BB4_1205 Depth=2
	s_waitcnt lgkmcnt(0)
	s_waitcnt_vscnt null, 0x0
	buffer_gl1_inv
	buffer_gl0_inv
.LBB4_1338:                             ;   in Loop: Header=BB4_1205 Depth=2
	s_or_b32 exec_lo, exec_lo, s13
.LBB4_1339:                             ;   in Loop: Header=BB4_1205 Depth=2
	s_and_not1_saveexec_b32 s12, s12
	s_cbranch_execz .LBB4_1361
; %bb.1340:                             ;   in Loop: Header=BB4_1205 Depth=2
	s_and_saveexec_b32 s13, s4
	s_delay_alu instid0(SALU_CYCLE_1)
	s_xor_b32 s13, exec_lo, s13
	s_cbranch_execz .LBB4_1358
; %bb.1341:                             ;   in Loop: Header=BB4_1205 Depth=2
	s_and_saveexec_b32 s14, s1
	s_cbranch_execz .LBB4_1357
; %bb.1342:                             ;   in Loop: Header=BB4_1205 Depth=2
	s_mov_b32 s21, exec_lo
	s_mov_b32 s19, exec_lo
	v_mbcnt_lo_u32_b32 v2, s21, 0
	;;#ASMSTART
	s_waitcnt lgkmcnt(0) vmcnt(0)
	;;#ASMEND
	s_delay_alu instid0(VALU_DEP_1)
	v_cmpx_eq_u32_e32 0, v2
	s_cbranch_execz .LBB4_1344
; %bb.1343:                             ;   in Loop: Header=BB4_1205 Depth=2
	s_bcnt1_i32_b32 s21, s21
	s_delay_alu instid0(SALU_CYCLE_1)
	v_mov_b32_e32 v2, s21
	ds_add_u64 v0, v[2:3]
	s_cbranch_execnz .LBB4_1885
.LBB4_1344:                             ;   in Loop: Header=BB4_1205 Depth=2
	s_or_b32 exec_lo, exec_lo, s19
	s_cbranch_execnz .LBB4_1865
; %bb.1345:                             ;   in Loop: Header=BB4_1205 Depth=2
	ds_load_b64 v[38:39], v0
	v_add_co_u32 v12, vcc_lo, v12, v86
	v_add_co_ci_u32_e32 v13, vcc_lo, 0, v13, vcc_lo
	s_mov_b32 s19, exec_lo
	s_waitcnt lgkmcnt(0)
	s_delay_alu instid0(VALU_DEP_1)
	v_cmpx_lt_u64_e64 v[38:39], v[12:13]
	s_cbranch_execz .LBB4_1356
; %bb.1346:                             ;   in Loop: Header=BB4_1205 Depth=2
	s_mov_b32 s21, 0
	s_mov_b32 s37, 0
                                        ; implicit-def: $sgpr35
                                        ; implicit-def: $sgpr36
	s_branch .LBB4_1348
.LBB4_1347:                             ;   in Loop: Header=BB4_1348 Depth=3
	s_or_b32 exec_lo, exec_lo, s40
	s_delay_alu instid0(SALU_CYCLE_1) | instskip(NEXT) | instid1(SALU_CYCLE_1)
	s_and_b32 vcc_lo, exec_lo, vcc_lo
	s_or_b32 s21, vcc_lo, s21
	s_and_not1_b32 vcc_lo, s35, exec_lo
	s_and_b32 s35, s36, exec_lo
	s_delay_alu instid0(SALU_CYCLE_1)
	s_or_b32 s35, vcc_lo, s35
	s_and_not1_b32 exec_lo, exec_lo, s21
	s_cbranch_execz .LBB4_1354
.LBB4_1348:                             ;   Parent Loop BB4_55 Depth=1
                                        ;     Parent Loop BB4_1205 Depth=2
                                        ; =>    This Inner Loop Header: Depth=3
	s_add_i32 s37, s37, 1
                                        ; implicit-def: $sgpr40
	s_delay_alu instid0(SALU_CYCLE_1) | instskip(SKIP_1) | instid1(SALU_CYCLE_1)
	s_cmpk_lg_i32 s37, 0x2710
	s_cselect_b32 s38, -1, 0
	s_and_b32 vcc_lo, exec_lo, s38
	s_cbranch_vccnz .LBB4_1351
; %bb.1349:                             ;   in Loop: Header=BB4_1348 Depth=3
	s_cbranch_execnz .LBB4_1931
; %bb.1350:                             ;   in Loop: Header=BB4_1348 Depth=3
	ds_load_b64 v[38:39], v0
	s_and_not1_b32 s38, s38, exec_lo
	s_mov_b32 s37, 0
	s_mov_b32 s40, -1
	s_waitcnt lgkmcnt(0)
	s_waitcnt_vscnt null, 0x0
	flat_load_b32 v2, v[38:39] glc
	s_waitcnt vmcnt(0) lgkmcnt(0)
	buffer_gl1_inv
	buffer_gl0_inv
	v_cmp_eq_u32_e32 vcc_lo, 0, v2
	s_and_b32 vcc_lo, vcc_lo, exec_lo
	s_delay_alu instid0(SALU_CYCLE_1)
	s_or_b32 s38, s38, vcc_lo
.LBB4_1351:                             ;   in Loop: Header=BB4_1348 Depth=3
	s_and_not1_b32 s36, s36, exec_lo
	s_and_b32 s40, s40, exec_lo
	s_mov_b32 vcc_lo, -1
	s_or_b32 s36, s36, s40
	s_and_saveexec_b32 s40, s38
	s_cbranch_execz .LBB4_1347
; %bb.1352:                             ;   in Loop: Header=BB4_1348 Depth=3
	s_sleep 1
	s_cbranch_execnz .LBB4_1917
; %bb.1353:                             ;   in Loop: Header=BB4_1348 Depth=3
	ds_load_b64 v[38:39], v0
	s_and_not1_b32 s36, s36, exec_lo
	s_waitcnt lgkmcnt(0)
	v_cmp_ge_u64_e32 vcc_lo, v[38:39], v[12:13]
	s_or_not1_b32 vcc_lo, vcc_lo, exec_lo
	s_branch .LBB4_1347
.LBB4_1354:                             ;   in Loop: Header=BB4_1205 Depth=2
	s_or_b32 exec_lo, exec_lo, s21
	s_and_saveexec_b32 s21, s35
	s_delay_alu instid0(SALU_CYCLE_1)
	s_xor_b32 s21, exec_lo, s21
	s_cbranch_execz .LBB4_1356
; %bb.1355:                             ;   in Loop: Header=BB4_1205 Depth=2
	ds_store_b32 v0, v131
	s_cbranch_execnz .LBB4_1979
.LBB4_1356:                             ;   in Loop: Header=BB4_1205 Depth=2
	s_or_b32 exec_lo, exec_lo, s19
	;;#ASMSTART
	s_wakeup
	;;#ASMEND
.LBB4_1357:                             ;   in Loop: Header=BB4_1205 Depth=2
	s_or_b32 exec_lo, exec_lo, s14
.LBB4_1358:                             ;   in Loop: Header=BB4_1205 Depth=2
	s_and_not1_saveexec_b32 s13, s13
	s_cbranch_execz .LBB4_1360
; %bb.1359:                             ;   in Loop: Header=BB4_1205 Depth=2
	;;#ASMSTART
	s_waitcnt lgkmcnt(0) vmcnt(0)
	;;#ASMEND
	s_waitcnt lgkmcnt(0)
	s_waitcnt_vscnt null, 0x0
	s_barrier
.LBB4_1360:                             ;   in Loop: Header=BB4_1205 Depth=2
	s_or_b32 exec_lo, exec_lo, s13
.LBB4_1361:                             ;   in Loop: Header=BB4_1205 Depth=2
	s_delay_alu instid0(SALU_CYCLE_1) | instskip(SKIP_2) | instid1(VALU_DEP_1)
	s_or_b32 exec_lo, exec_lo, s12
	v_and_b32_e32 v2, 32, v30
	s_mov_b32 s12, exec_lo
	v_cmpx_ne_u32_e32 0, v2
	s_cbranch_execz .LBB4_1363
; %bb.1362:                             ;   in Loop: Header=BB4_1205 Depth=2
	v_add_co_u32 v22, vcc_lo, v22, 2
	v_add_co_ci_u32_e32 v23, vcc_lo, 0, v23, vcc_lo
	s_waitcnt lgkmcnt(0)
	s_waitcnt_vscnt null, 0x0
	flat_store_b64 v[20:21], v[22:23]
.LBB4_1363:                             ;   in Loop: Header=BB4_1205 Depth=2
	s_or_b32 exec_lo, exec_lo, s12
	v_add_nc_u32_e32 v8, v51, v8
	s_xor_b32 s12, s31, -1
	v_mov_b32_e32 v2, s34
	s_mov_b32 s31, 0
	s_mov_b32 s34, 2
	v_cmp_ge_i32_e32 vcc_lo, v8, v50
	s_or_b32 s12, s12, vcc_lo
	s_delay_alu instid0(SALU_CYCLE_1) | instskip(NEXT) | instid1(SALU_CYCLE_1)
	s_and_b32 s12, exec_lo, s12
	s_or_b32 s30, s12, s30
	s_delay_alu instid0(SALU_CYCLE_1)
	s_and_not1_b32 exec_lo, exec_lo, s30
	s_cbranch_execnz .LBB4_1205
; %bb.1364:                             ;   in Loop: Header=BB4_55 Depth=1
	s_or_b32 exec_lo, exec_lo, s30
.LBB4_1365:                             ;   in Loop: Header=BB4_55 Depth=1
	s_delay_alu instid0(SALU_CYCLE_1) | instskip(NEXT) | instid1(SALU_CYCLE_1)
	s_or_b32 exec_lo, exec_lo, s15
	s_mov_b32 s12, exec_lo
	v_cmpx_gt_i32_e32 2, v2
	s_cbranch_execz .LBB4_1444
; %bb.1366:                             ;   in Loop: Header=BB4_55 Depth=1
	v_cmp_eq_u32_e64 s13, 0, v2
	s_mov_b32 s14, 0
.LBB4_1367:                             ;   Parent Loop BB4_55 Depth=1
                                        ; =>  This Loop Header: Depth=2
                                        ;       Child Loop BB4_1373 Depth 3
                                        ;       Child Loop BB4_1400 Depth 3
	;; [unrolled: 1-line block ×3, first 2 shown]
	v_and_b32_e32 v2, 4, v30
	s_mov_b32 s19, -1
	s_mov_b32 s15, exec_lo
	s_delay_alu instid0(VALU_DEP_1)
	v_cmpx_ne_u32_e32 0, v2
	s_cbranch_execz .LBB4_1381
; %bb.1368:                             ;   in Loop: Header=BB4_1367 Depth=2
	v_add_co_u32 v9, vcc_lo, v22, 2
	v_add_co_ci_u32_e32 v10, vcc_lo, 0, v23, vcc_lo
	v_mov_b32_e32 v2, 1
	s_mov_b32 s19, exec_lo
	s_delay_alu instid0(VALU_DEP_2)
	v_cmpx_lt_u64_e64 v[28:29], v[9:10]
	s_cbranch_execz .LBB4_1380
; %bb.1369:                             ;   in Loop: Header=BB4_1367 Depth=2
	v_mov_b32_e32 v2, 0
	s_mov_b32 s21, 0
                                        ; implicit-def: $sgpr30
	s_branch .LBB4_1373
.LBB4_1370:                             ;   in Loop: Header=BB4_1373 Depth=3
	s_or_b32 exec_lo, exec_lo, s36
	v_mov_b32_e32 v11, 0
	s_or_not1_b32 s35, s35, exec_lo
.LBB4_1371:                             ;   in Loop: Header=BB4_1373 Depth=3
	s_or_b32 exec_lo, exec_lo, s34
	s_delay_alu instid0(VALU_DEP_1) | instskip(SKIP_2) | instid1(SALU_CYCLE_1)
	v_mov_b32_e32 v2, v11
	s_and_not1_b32 vcc_lo, s30, exec_lo
	s_and_b32 s30, s35, exec_lo
	s_or_b32 s30, vcc_lo, s30
.LBB4_1372:                             ;   in Loop: Header=BB4_1373 Depth=3
	s_or_b32 exec_lo, exec_lo, s31
	s_waitcnt vmcnt(0) lgkmcnt(0)
	v_cmp_ge_u64_e32 vcc_lo, v[28:29], v[9:10]
	s_xor_b32 s31, s30, -1
	s_delay_alu instid0(SALU_CYCLE_1) | instskip(NEXT) | instid1(SALU_CYCLE_1)
	s_or_b32 vcc_lo, s31, vcc_lo
	s_and_b32 vcc_lo, exec_lo, vcc_lo
	s_delay_alu instid0(SALU_CYCLE_1) | instskip(NEXT) | instid1(SALU_CYCLE_1)
	s_or_b32 s21, vcc_lo, s21
	s_and_not1_b32 exec_lo, exec_lo, s21
	s_cbranch_execz .LBB4_1379
.LBB4_1373:                             ;   Parent Loop BB4_55 Depth=1
                                        ;     Parent Loop BB4_1367 Depth=2
                                        ; =>    This Inner Loop Header: Depth=3
	s_sleep 1
	flat_load_b64 v[28:29], v[20:21] glc
	v_and_b32_e32 v11, 64, v30
	s_and_not1_b32 s30, s30, exec_lo
	s_mov_b32 s31, exec_lo
	s_delay_alu instid0(VALU_DEP_1)
	v_cmpx_eq_u32_e32 0, v11
	s_cbranch_execz .LBB4_1372
; %bb.1374:                             ;   in Loop: Header=BB4_1373 Depth=3
	v_add_nc_u32_e32 v11, 1, v2
	s_mov_b32 s35, -1
	s_mov_b32 s34, exec_lo
	v_cmpx_lt_i32_e32 0x270e, v2
	s_cbranch_execz .LBB4_1371
; %bb.1375:                             ;   in Loop: Header=BB4_1373 Depth=3
	s_cbranch_execnz .LBB4_1651
; %bb.1376:                             ;   in Loop: Header=BB4_1373 Depth=3
	ds_load_b64 v[38:39], v0
	s_mov_b32 s36, exec_lo
	s_waitcnt vmcnt(0) lgkmcnt(0)
	s_waitcnt_vscnt null, 0x0
	flat_load_b32 v2, v[38:39] glc
	s_waitcnt vmcnt(0) lgkmcnt(0)
	buffer_gl1_inv
	buffer_gl0_inv
	v_cmpx_ne_u32_e32 0, v2
	s_cbranch_execz .LBB4_1370
; %bb.1377:                             ;   in Loop: Header=BB4_1373 Depth=3
	ds_store_b32 v0, v2
	s_cbranch_execnz .LBB4_1729
; %bb.1378:                             ;   in Loop: Header=BB4_1373 Depth=3
	v_or_b32_e32 v30, 64, v30
	s_xor_b32 s35, exec_lo, -1
	s_branch .LBB4_1370
.LBB4_1379:                             ;   in Loop: Header=BB4_1367 Depth=2
	s_or_b32 exec_lo, exec_lo, s21
	v_and_b32_e32 v2, 4, v30
.LBB4_1380:                             ;   in Loop: Header=BB4_1367 Depth=2
	s_or_b32 exec_lo, exec_lo, s19
	s_delay_alu instid0(VALU_DEP_1)
	v_cmp_eq_u32_e32 vcc_lo, 0, v2
	;;#ASMSTART
	s_wakeup
	;;#ASMEND
	s_or_not1_b32 s19, vcc_lo, exec_lo
.LBB4_1381:                             ;   in Loop: Header=BB4_1367 Depth=2
	s_or_b32 exec_lo, exec_lo, s15
	s_xor_b32 s13, s13, -1
	s_delay_alu instid0(SALU_CYCLE_1) | instskip(NEXT) | instid1(SALU_CYCLE_1)
	s_and_b32 s13, exec_lo, s13
	s_or_b32 s14, s13, s14
	s_xor_b32 s13, s19, -1
	s_delay_alu instid0(SALU_CYCLE_1)
	s_and_saveexec_b32 s15, s13
	s_cbranch_execz .LBB4_1391
; %bb.1382:                             ;   in Loop: Header=BB4_1367 Depth=2
	v_and_b32_e32 v2, 0x100, v30
	s_mov_b32 s13, -1
                                        ; implicit-def: $vgpr9_vgpr10
	s_delay_alu instid0(VALU_DEP_1)
	v_cmp_ne_u32_e32 vcc_lo, 0, v2
	v_and_b32_e32 v2, 7, v22
	s_and_saveexec_b32 s19, vcc_lo
	s_cbranch_execz .LBB4_1386
; %bb.1383:                             ;   in Loop: Header=BB4_1367 Depth=2
	s_delay_alu instid0(VALU_DEP_1) | instskip(SKIP_4) | instid1(VALU_DEP_1)
	v_mad_u64_u32 v[38:39], null, v2, 24, v[6:7]
	flat_load_b32 v9, v[38:39]
	s_waitcnt vmcnt(0) lgkmcnt(0)
	v_cmp_ne_u32_e32 vcc_lo, 1, v9
	v_cmp_eq_u32_e64 s13, 1, v9
                                        ; implicit-def: $vgpr9_vgpr10
	s_and_saveexec_b32 s21, s13
	s_cbranch_execz .LBB4_1385
; %bb.1384:                             ;   in Loop: Header=BB4_1367 Depth=2
	flat_load_b32 v9, v[38:39] offset:4 glc
	s_waitcnt vmcnt(0) lgkmcnt(0)
	v_ashrrev_i32_e32 v10, 31, v9
	s_delay_alu instid0(VALU_DEP_1)
	v_lshrrev_b64 v[9:10], 3, v[9:10]
.LBB4_1385:                             ;   in Loop: Header=BB4_1367 Depth=2
	s_or_b32 exec_lo, exec_lo, s21
	s_delay_alu instid0(SALU_CYCLE_1)
	s_or_not1_b32 s13, vcc_lo, exec_lo
.LBB4_1386:                             ;   in Loop: Header=BB4_1367 Depth=2
	s_or_b32 exec_lo, exec_lo, s19
	s_and_saveexec_b32 s19, s13
; %bb.1387:                             ;   in Loop: Header=BB4_1367 Depth=2
	v_mad_i64_i32 v[9:10], null, v2, v84, 0
; %bb.1388:                             ;   in Loop: Header=BB4_1367 Depth=2
	s_or_b32 exec_lo, exec_lo, s19
	s_delay_alu instid0(VALU_DEP_1) | instskip(SKIP_2) | instid1(VALU_DEP_2)
	v_lshlrev_b64 v[9:10], 3, v[9:10]
	v_and_b32_e32 v2, 0x2000, v30
	s_mov_b32 s13, exec_lo
	v_add_co_u32 v9, vcc_lo, v24, v9
	s_delay_alu instid0(VALU_DEP_3)
	v_add_co_ci_u32_e32 v10, vcc_lo, v25, v10, vcc_lo
	ds_store_b64 v0, v[9:10] offset:720
	v_cmpx_ne_u32_e32 0, v2
	s_cbranch_execz .LBB4_1390
; %bb.1389:                             ;   in Loop: Header=BB4_1367 Depth=2
	ds_load_b64 v[9:10], v0 offset:584
	s_waitcnt lgkmcnt(0)
	v_add_co_u32 v9, vcc_lo, v9, 1
	v_add_co_ci_u32_e32 v10, vcc_lo, 0, v10, vcc_lo
	ds_store_b64 v0, v[9:10] offset:584
.LBB4_1390:                             ;   in Loop: Header=BB4_1367 Depth=2
	s_or_b32 exec_lo, exec_lo, s13
	v_add_co_u32 v22, vcc_lo, v22, 2
	v_add_co_ci_u32_e32 v23, vcc_lo, 0, v23, vcc_lo
.LBB4_1391:                             ;   in Loop: Header=BB4_1367 Depth=2
	s_or_b32 exec_lo, exec_lo, s15
	s_and_saveexec_b32 s13, s3
	s_cbranch_execz .LBB4_1413
; %bb.1392:                             ;   in Loop: Header=BB4_1367 Depth=2
	s_and_saveexec_b32 s15, s4
	s_delay_alu instid0(SALU_CYCLE_1)
	s_xor_b32 s15, exec_lo, s15
	s_cbranch_execz .LBB4_1410
; %bb.1393:                             ;   in Loop: Header=BB4_1367 Depth=2
	s_and_saveexec_b32 s19, s1
	s_cbranch_execz .LBB4_1409
; %bb.1394:                             ;   in Loop: Header=BB4_1367 Depth=2
	s_mov_b32 s30, exec_lo
	s_mov_b32 s21, exec_lo
	v_mbcnt_lo_u32_b32 v2, s30, 0
	s_waitcnt lgkmcnt(0)
	s_waitcnt_vscnt null, 0x0
	buffer_gl1_inv
	buffer_gl0_inv
	v_cmpx_eq_u32_e32 0, v2
	s_cbranch_execz .LBB4_1396
; %bb.1395:                             ;   in Loop: Header=BB4_1367 Depth=2
	s_bcnt1_i32_b32 vcc_lo, s30
	s_delay_alu instid0(SALU_CYCLE_1)
	v_mov_b32_e32 v2, vcc_lo
	ds_add_u64 v0, v[2:3]
	s_cbranch_execnz .LBB4_1763
.LBB4_1396:                             ;   in Loop: Header=BB4_1367 Depth=2
	s_or_b32 exec_lo, exec_lo, s21
	s_cbranch_execnz .LBB4_1741
; %bb.1397:                             ;   in Loop: Header=BB4_1367 Depth=2
	ds_load_b64 v[9:10], v0
	v_add_co_u32 v12, vcc_lo, v12, v86
	v_add_co_ci_u32_e32 v13, vcc_lo, 0, v13, vcc_lo
	s_mov_b32 s21, exec_lo
	s_waitcnt lgkmcnt(0)
	s_delay_alu instid0(VALU_DEP_1)
	v_cmpx_lt_u64_e64 v[9:10], v[12:13]
	s_cbranch_execz .LBB4_1408
; %bb.1398:                             ;   in Loop: Header=BB4_1367 Depth=2
	s_mov_b32 s30, 0
	s_mov_b32 s35, 0
                                        ; implicit-def: $sgpr31
                                        ; implicit-def: $sgpr34
	s_branch .LBB4_1400
.LBB4_1399:                             ;   in Loop: Header=BB4_1400 Depth=3
	s_or_b32 exec_lo, exec_lo, s37
	s_delay_alu instid0(SALU_CYCLE_1) | instskip(NEXT) | instid1(SALU_CYCLE_1)
	s_and_b32 vcc_lo, exec_lo, vcc_lo
	s_or_b32 s30, vcc_lo, s30
	s_and_not1_b32 vcc_lo, s31, exec_lo
	s_and_b32 s31, s34, exec_lo
	s_delay_alu instid0(SALU_CYCLE_1)
	s_or_b32 s31, vcc_lo, s31
	s_and_not1_b32 exec_lo, exec_lo, s30
	s_cbranch_execz .LBB4_1406
.LBB4_1400:                             ;   Parent Loop BB4_55 Depth=1
                                        ;     Parent Loop BB4_1367 Depth=2
                                        ; =>    This Inner Loop Header: Depth=3
	s_add_i32 s35, s35, 1
                                        ; implicit-def: $sgpr37
	s_delay_alu instid0(SALU_CYCLE_1) | instskip(SKIP_1) | instid1(SALU_CYCLE_1)
	s_cmpk_lg_i32 s35, 0x2710
	s_cselect_b32 s36, -1, 0
	s_and_b32 vcc_lo, exec_lo, s36
	s_cbranch_vccz .LBB4_1404
.LBB4_1401:                             ;   in Loop: Header=BB4_1400 Depth=3
	s_and_not1_b32 s34, s34, exec_lo
	s_and_b32 s37, s37, exec_lo
	s_mov_b32 vcc_lo, -1
	s_or_b32 s34, s34, s37
	s_and_saveexec_b32 s37, s36
	s_cbranch_execz .LBB4_1399
; %bb.1402:                             ;   in Loop: Header=BB4_1400 Depth=3
	s_sleep 1
	s_cbranch_execnz .LBB4_1815
; %bb.1403:                             ;   in Loop: Header=BB4_1400 Depth=3
	ds_load_b64 v[9:10], v0
	s_and_not1_b32 s34, s34, exec_lo
	s_waitcnt lgkmcnt(0)
	v_cmp_ge_u64_e32 vcc_lo, v[9:10], v[12:13]
	s_or_not1_b32 vcc_lo, vcc_lo, exec_lo
	s_branch .LBB4_1399
.LBB4_1404:                             ;   in Loop: Header=BB4_1400 Depth=3
	s_cbranch_execnz .LBB4_1835
; %bb.1405:                             ;   in Loop: Header=BB4_1400 Depth=3
	ds_load_b64 v[9:10], v0
	s_and_not1_b32 s36, s36, exec_lo
	s_mov_b32 s35, 0
	s_mov_b32 s37, -1
	s_waitcnt lgkmcnt(0)
	flat_load_b32 v2, v[9:10] glc
	s_waitcnt vmcnt(0) lgkmcnt(0)
	buffer_gl1_inv
	buffer_gl0_inv
	v_cmp_eq_u32_e32 vcc_lo, 0, v2
	s_and_b32 vcc_lo, vcc_lo, exec_lo
	s_delay_alu instid0(SALU_CYCLE_1)
	s_or_b32 s36, s36, vcc_lo
	s_branch .LBB4_1401
.LBB4_1406:                             ;   in Loop: Header=BB4_1367 Depth=2
	s_or_b32 exec_lo, exec_lo, s30
	s_and_saveexec_b32 vcc_lo, s31
	s_delay_alu instid0(SALU_CYCLE_1)
	s_xor_b32 vcc_lo, exec_lo, vcc_lo
	s_cbranch_execz .LBB4_1408
; %bb.1407:                             ;   in Loop: Header=BB4_1367 Depth=2
	ds_store_b32 v0, v131
	s_cbranch_execnz .LBB4_1957
.LBB4_1408:                             ;   in Loop: Header=BB4_1367 Depth=2
	s_or_b32 exec_lo, exec_lo, s21
	;;#ASMSTART
	s_wakeup
	;;#ASMEND
.LBB4_1409:                             ;   in Loop: Header=BB4_1367 Depth=2
	s_or_b32 exec_lo, exec_lo, s19
.LBB4_1410:                             ;   in Loop: Header=BB4_1367 Depth=2
	s_and_not1_saveexec_b32 s15, s15
	s_cbranch_execz .LBB4_1412
; %bb.1411:                             ;   in Loop: Header=BB4_1367 Depth=2
	s_waitcnt lgkmcnt(0)
	s_waitcnt_vscnt null, 0x0
	buffer_gl1_inv
	buffer_gl0_inv
	s_barrier
.LBB4_1412:                             ;   in Loop: Header=BB4_1367 Depth=2
	s_or_b32 exec_lo, exec_lo, s15
.LBB4_1413:                             ;   in Loop: Header=BB4_1367 Depth=2
	s_delay_alu instid0(SALU_CYCLE_1) | instskip(SKIP_1) | instid1(VALU_DEP_1)
	s_or_b32 exec_lo, exec_lo, s13
	v_sub_nc_u32_e32 v2, v50, v8
	v_min_i32_e32 v51, v51, v2
	s_and_saveexec_b32 s13, s7
	s_delay_alu instid0(SALU_CYCLE_1)
	s_xor_b32 s15, exec_lo, s13
	s_cbranch_execz .LBB4_1418
; %bb.1414:                             ;   in Loop: Header=BB4_1367 Depth=2
	s_cbranch_execnz .LBB4_1647
; %bb.1415:                             ;   in Loop: Header=BB4_1367 Depth=2
	ds_load_b32 v2, v0
	v_cmp_lt_i32_e32 vcc_lo, 0, v51
	s_waitcnt lgkmcnt(0)
	v_readfirstlane_b32 s13, v2
	v_and_b32_e32 v2, 16, v30
	s_delay_alu instid0(VALU_DEP_2) | instskip(NEXT) | instid1(VALU_DEP_1)
	s_cmp_eq_u32 s13, 0
	v_cmp_ne_u32_e64 s13, 0, v2
	s_cselect_b32 s19, -1, 0
	s_delay_alu instid0(SALU_CYCLE_1)
	s_and_b32 s19, vcc_lo, s19
	s_delay_alu instid0(VALU_DEP_1) | instid1(SALU_CYCLE_1)
	s_and_b32 s19, s13, s19
	s_delay_alu instid0(SALU_CYCLE_1)
	s_and_saveexec_b32 s13, s19
	s_cbranch_execz .LBB4_1417
; %bb.1416:                             ;   in Loop: Header=BB4_1367 Depth=2
	s_waitcnt_vscnt null, 0x0
	buffer_gl1_inv
	buffer_gl0_inv
.LBB4_1417:                             ;   in Loop: Header=BB4_1367 Depth=2
	s_or_b32 exec_lo, exec_lo, s13
.LBB4_1418:                             ;   in Loop: Header=BB4_1367 Depth=2
	s_and_not1_saveexec_b32 s13, s15
	s_cbranch_execz .LBB4_1440
; %bb.1419:                             ;   in Loop: Header=BB4_1367 Depth=2
	s_and_saveexec_b32 s15, s4
	s_delay_alu instid0(SALU_CYCLE_1)
	s_xor_b32 s15, exec_lo, s15
	s_cbranch_execz .LBB4_1437
; %bb.1420:                             ;   in Loop: Header=BB4_1367 Depth=2
	s_and_saveexec_b32 s19, s1
	s_cbranch_execz .LBB4_1436
; %bb.1421:                             ;   in Loop: Header=BB4_1367 Depth=2
	s_mov_b32 s30, exec_lo
	s_mov_b32 s21, exec_lo
	v_mbcnt_lo_u32_b32 v2, s30, 0
	;;#ASMSTART
	s_waitcnt lgkmcnt(0) vmcnt(0)
	;;#ASMEND
	s_delay_alu instid0(VALU_DEP_1)
	v_cmpx_eq_u32_e32 0, v2
	s_cbranch_execz .LBB4_1423
; %bb.1422:                             ;   in Loop: Header=BB4_1367 Depth=2
	s_bcnt1_i32_b32 vcc_lo, s30
	s_delay_alu instid0(SALU_CYCLE_1)
	v_mov_b32_e32 v2, vcc_lo
	ds_add_u64 v0, v[2:3]
	s_cbranch_execnz .LBB4_1789
.LBB4_1423:                             ;   in Loop: Header=BB4_1367 Depth=2
	s_or_b32 exec_lo, exec_lo, s21
	s_cbranch_execnz .LBB4_1761
; %bb.1424:                             ;   in Loop: Header=BB4_1367 Depth=2
	ds_load_b64 v[9:10], v0
	v_add_co_u32 v12, vcc_lo, v12, v86
	v_add_co_ci_u32_e32 v13, vcc_lo, 0, v13, vcc_lo
	s_mov_b32 s21, exec_lo
	s_waitcnt lgkmcnt(0)
	s_delay_alu instid0(VALU_DEP_1)
	v_cmpx_lt_u64_e64 v[9:10], v[12:13]
	s_cbranch_execz .LBB4_1435
; %bb.1425:                             ;   in Loop: Header=BB4_1367 Depth=2
	s_mov_b32 s30, 0
	s_mov_b32 s35, 0
                                        ; implicit-def: $sgpr31
                                        ; implicit-def: $sgpr34
	s_branch .LBB4_1427
.LBB4_1426:                             ;   in Loop: Header=BB4_1427 Depth=3
	s_or_b32 exec_lo, exec_lo, s37
	s_delay_alu instid0(SALU_CYCLE_1) | instskip(NEXT) | instid1(SALU_CYCLE_1)
	s_and_b32 vcc_lo, exec_lo, vcc_lo
	s_or_b32 s30, vcc_lo, s30
	s_and_not1_b32 vcc_lo, s31, exec_lo
	s_and_b32 s31, s34, exec_lo
	s_delay_alu instid0(SALU_CYCLE_1)
	s_or_b32 s31, vcc_lo, s31
	s_and_not1_b32 exec_lo, exec_lo, s30
	s_cbranch_execz .LBB4_1433
.LBB4_1427:                             ;   Parent Loop BB4_55 Depth=1
                                        ;     Parent Loop BB4_1367 Depth=2
                                        ; =>    This Inner Loop Header: Depth=3
	s_add_i32 s35, s35, 1
                                        ; implicit-def: $sgpr37
	s_delay_alu instid0(SALU_CYCLE_1) | instskip(SKIP_1) | instid1(SALU_CYCLE_1)
	s_cmpk_lg_i32 s35, 0x2710
	s_cselect_b32 s36, -1, 0
	s_and_b32 vcc_lo, exec_lo, s36
	s_cbranch_vccz .LBB4_1431
.LBB4_1428:                             ;   in Loop: Header=BB4_1427 Depth=3
	s_and_not1_b32 s34, s34, exec_lo
	s_and_b32 s37, s37, exec_lo
	s_mov_b32 vcc_lo, -1
	s_or_b32 s34, s34, s37
	s_and_saveexec_b32 s37, s36
	s_cbranch_execz .LBB4_1426
; %bb.1429:                             ;   in Loop: Header=BB4_1427 Depth=3
	s_sleep 1
	s_cbranch_execnz .LBB4_1841
; %bb.1430:                             ;   in Loop: Header=BB4_1427 Depth=3
	ds_load_b64 v[9:10], v0
	s_and_not1_b32 s34, s34, exec_lo
	s_waitcnt lgkmcnt(0)
	v_cmp_ge_u64_e32 vcc_lo, v[9:10], v[12:13]
	s_or_not1_b32 vcc_lo, vcc_lo, exec_lo
	s_branch .LBB4_1426
.LBB4_1431:                             ;   in Loop: Header=BB4_1427 Depth=3
	s_cbranch_execnz .LBB4_1861
; %bb.1432:                             ;   in Loop: Header=BB4_1427 Depth=3
	ds_load_b64 v[9:10], v0
	s_and_not1_b32 s36, s36, exec_lo
	s_mov_b32 s35, 0
	s_mov_b32 s37, -1
	s_waitcnt lgkmcnt(0)
	s_waitcnt_vscnt null, 0x0
	flat_load_b32 v2, v[9:10] glc
	s_waitcnt vmcnt(0) lgkmcnt(0)
	buffer_gl1_inv
	buffer_gl0_inv
	v_cmp_eq_u32_e32 vcc_lo, 0, v2
	s_and_b32 vcc_lo, vcc_lo, exec_lo
	s_delay_alu instid0(SALU_CYCLE_1)
	s_or_b32 s36, s36, vcc_lo
	s_branch .LBB4_1428
.LBB4_1433:                             ;   in Loop: Header=BB4_1367 Depth=2
	s_or_b32 exec_lo, exec_lo, s30
	s_and_saveexec_b32 vcc_lo, s31
	s_delay_alu instid0(SALU_CYCLE_1)
	s_xor_b32 vcc_lo, exec_lo, vcc_lo
	s_cbranch_execz .LBB4_1435
; %bb.1434:                             ;   in Loop: Header=BB4_1367 Depth=2
	ds_store_b32 v0, v131
	s_cbranch_execnz .LBB4_1965
.LBB4_1435:                             ;   in Loop: Header=BB4_1367 Depth=2
	s_or_b32 exec_lo, exec_lo, s21
	;;#ASMSTART
	s_wakeup
	;;#ASMEND
.LBB4_1436:                             ;   in Loop: Header=BB4_1367 Depth=2
	s_or_b32 exec_lo, exec_lo, s19
.LBB4_1437:                             ;   in Loop: Header=BB4_1367 Depth=2
	s_and_not1_saveexec_b32 s15, s15
	s_cbranch_execz .LBB4_1439
; %bb.1438:                             ;   in Loop: Header=BB4_1367 Depth=2
	;;#ASMSTART
	s_waitcnt lgkmcnt(0) vmcnt(0)
	;;#ASMEND
	s_waitcnt lgkmcnt(0)
	s_waitcnt_vscnt null, 0x0
	s_barrier
.LBB4_1439:                             ;   in Loop: Header=BB4_1367 Depth=2
	s_or_b32 exec_lo, exec_lo, s15
.LBB4_1440:                             ;   in Loop: Header=BB4_1367 Depth=2
	s_delay_alu instid0(SALU_CYCLE_1) | instskip(SKIP_2) | instid1(VALU_DEP_1)
	s_or_b32 exec_lo, exec_lo, s13
	v_and_b32_e32 v2, 32, v30
	s_mov_b32 s13, exec_lo
	v_cmpx_ne_u32_e32 0, v2
	s_cbranch_execz .LBB4_1442
; %bb.1441:                             ;   in Loop: Header=BB4_1367 Depth=2
	v_add_co_u32 v22, vcc_lo, v22, 2
	v_add_co_ci_u32_e32 v23, vcc_lo, 0, v23, vcc_lo
	s_waitcnt lgkmcnt(0)
	s_waitcnt_vscnt null, 0x0
	flat_store_b64 v[20:21], v[22:23]
.LBB4_1442:                             ;   in Loop: Header=BB4_1367 Depth=2
	s_or_b32 exec_lo, exec_lo, s13
	v_add_nc_u32_e32 v8, v51, v8
	s_mov_b32 s13, 0
	s_and_not1_b32 exec_lo, exec_lo, s14
	s_cbranch_execnz .LBB4_1367
; %bb.1443:                             ;   in Loop: Header=BB4_55 Depth=1
	s_or_b32 exec_lo, exec_lo, s14
.LBB4_1444:                             ;   in Loop: Header=BB4_55 Depth=1
	s_delay_alu instid0(SALU_CYCLE_1)
	s_or_b32 exec_lo, exec_lo, s12
	v_add_co_u32 v34, vcc_lo, v34, v32
	v_add_co_ci_u32_e32 v35, vcc_lo, v35, v33, vcc_lo
	v_readlane_b32 s12, v42, 1
	v_readlane_b32 s13, v42, 2
	;; [unrolled: 1-line block ×3, first 2 shown]
	s_delay_alu instid0(VALU_DEP_4)
	v_cmp_ge_i64_e32 vcc_lo, v[34:35], v[4:5]
	v_readlane_b32 s34, v42, 11
	v_readlane_b32 s35, v42, 10
	;; [unrolled: 1-line block ×3, first 2 shown]
	s_mov_b32 s31, s16
	s_mov_b32 s36, s17
	s_or_b32 s14, vcc_lo, s20
	v_readlane_b32 s20, v42, 7
	s_mov_b32 s21, s13
	s_mov_b32 s38, s3
	v_readlane_b32 s15, v42, 0
	s_and_not1_b32 exec_lo, exec_lo, s14
	s_cbranch_execnz .LBB4_55
; %bb.1445:
	s_or_b32 exec_lo, exec_lo, s14
.LBB4_1446:
	s_delay_alu instid0(SALU_CYCLE_1) | instskip(SKIP_2) | instid1(VALU_DEP_1)
	s_or_b32 exec_lo, exec_lo, s26
	v_and_b32_e32 v0, 0x800, v30
	s_mov_b32 s0, exec_lo
	v_cmpx_eq_u32_e32 0, v0
	s_cbranch_execz .LBB4_1697
; %bb.1447:
	v_and_b32_e32 v0, 48, v30
	s_mov_b32 s1, exec_lo
	s_delay_alu instid0(VALU_DEP_1)
	v_cmpx_ne_u32_e32 0, v0
	s_cbranch_execz .LBB4_1449
; %bb.1448:
	flat_store_b64 v[18:19], v[22:23] offset:104
.LBB4_1449:
	s_or_b32 exec_lo, exec_lo, s1
	v_and_b32_e32 v0, 0x88, v30
	s_mov_b32 s1, exec_lo
	s_delay_alu instid0(VALU_DEP_1)
	v_cmpx_eq_u32_e32 0x88, v0
	s_cbranch_execz .LBB4_1495
; %bb.1450:
	v_add_nc_u32_e32 v0, 6, v22
	s_mov_b32 s2, 0
                                        ; implicit-def: $sgpr3
	s_delay_alu instid0(VALU_DEP_1) | instskip(NEXT) | instid1(VALU_DEP_1)
	v_and_b32_e32 v0, 7, v0
	v_mad_u64_u32 v[2:3], null, v0, 24, v[6:7]
	v_mov_b32_e32 v0, 0
	s_delay_alu instid0(VALU_DEP_2) | instskip(NEXT) | instid1(VALU_DEP_3)
	v_add_co_u32 v2, vcc_lo, v2, 8
	v_add_co_ci_u32_e32 v3, vcc_lo, 0, v3, vcc_lo
	s_branch .LBB4_1481
.LBB4_1451:
	s_trap 2
	s_sendmsg_rtn_b32 s0, sendmsg(MSG_RTN_GET_DOORBELL)
	s_mov_b32 ttmp2, m0
	s_waitcnt lgkmcnt(0)
	s_and_b32 s0, s0, 0x3ff
	s_delay_alu instid0(SALU_CYCLE_1) | instskip(NEXT) | instid1(SALU_CYCLE_1)
	s_bitset1_b32 s0, 10
	s_mov_b32 m0, s0
	s_sendmsg sendmsg(MSG_INTERRUPT)
	s_mov_b32 m0, ttmp2
.LBB4_1452:                             ; =>This Inner Loop Header: Depth=1
	s_sethalt 5
	s_branch .LBB4_1452
.LBB4_1453:
	s_and_not1_saveexec_b32 s0, s0
	s_cbranch_execz .LBB4_7
.LBB4_1454:
	s_clause 0x1
	flat_load_b64 v[6:7], v[2:3] offset:96
	flat_load_b64 v[4:5], v[2:3] offset:72
	v_mov_b32_e32 v14, 0
	v_mov_b32_e32 v15, 0
	s_waitcnt vmcnt(1) lgkmcnt(1)
	v_lshlrev_b64 v[32:33], 6, v[6:7]
	s_or_b32 exec_lo, exec_lo, s0
	s_cbranch_execz .LBB4_8
.LBB4_1455:
	s_trap 2
	s_sendmsg_rtn_b32 s0, sendmsg(MSG_RTN_GET_DOORBELL)
	s_mov_b32 ttmp2, m0
	s_waitcnt lgkmcnt(0)
	s_and_b32 s0, s0, 0x3ff
	s_delay_alu instid0(SALU_CYCLE_1) | instskip(NEXT) | instid1(SALU_CYCLE_1)
	s_bitset1_b32 s0, 10
	s_mov_b32 m0, s0
	s_sendmsg sendmsg(MSG_INTERRUPT)
	s_mov_b32 m0, ttmp2
.LBB4_1456:                             ; =>This Inner Loop Header: Depth=1
	s_sethalt 5
	s_branch .LBB4_1456
.LBB4_1457:
	s_trap 2
	s_sendmsg_rtn_b32 s0, sendmsg(MSG_RTN_GET_DOORBELL)
	s_mov_b32 ttmp2, m0
	s_waitcnt lgkmcnt(0)
	s_and_b32 s0, s0, 0x3ff
	s_delay_alu instid0(SALU_CYCLE_1) | instskip(NEXT) | instid1(SALU_CYCLE_1)
	s_bitset1_b32 s0, 10
	s_mov_b32 m0, s0
	s_sendmsg sendmsg(MSG_INTERRUPT)
	s_mov_b32 m0, ttmp2
.LBB4_1458:                             ; =>This Inner Loop Header: Depth=1
	s_sethalt 5
	s_branch .LBB4_1458
.LBB4_1459:
	s_trap 2
	s_sendmsg_rtn_b32 s0, sendmsg(MSG_RTN_GET_DOORBELL)
	s_mov_b32 ttmp2, m0
	s_waitcnt lgkmcnt(0)
	s_and_b32 s0, s0, 0x3ff
	s_delay_alu instid0(SALU_CYCLE_1) | instskip(NEXT) | instid1(SALU_CYCLE_1)
	s_bitset1_b32 s0, 10
	s_mov_b32 m0, s0
	s_sendmsg sendmsg(MSG_INTERRUPT)
	s_mov_b32 m0, ttmp2
.LBB4_1460:                             ; =>This Inner Loop Header: Depth=1
	s_sethalt 5
	s_branch .LBB4_1460
.LBB4_1461:
	s_trap 2
	s_sendmsg_rtn_b32 s0, sendmsg(MSG_RTN_GET_DOORBELL)
	s_mov_b32 ttmp2, m0
	s_waitcnt lgkmcnt(0)
	s_and_b32 s0, s0, 0x3ff
	s_delay_alu instid0(SALU_CYCLE_1) | instskip(NEXT) | instid1(SALU_CYCLE_1)
	s_bitset1_b32 s0, 10
	s_mov_b32 m0, s0
	s_sendmsg sendmsg(MSG_INTERRUPT)
	s_mov_b32 m0, ttmp2
.LBB4_1462:                             ; =>This Inner Loop Header: Depth=1
	s_sethalt 5
	s_branch .LBB4_1462
.LBB4_1463:
	s_trap 2
	s_sendmsg_rtn_b32 s0, sendmsg(MSG_RTN_GET_DOORBELL)
	s_mov_b32 ttmp2, m0
	s_waitcnt lgkmcnt(0)
	s_and_b32 s0, s0, 0x3ff
	s_delay_alu instid0(SALU_CYCLE_1) | instskip(NEXT) | instid1(SALU_CYCLE_1)
	s_bitset1_b32 s0, 10
	s_mov_b32 m0, s0
	s_sendmsg sendmsg(MSG_INTERRUPT)
	s_mov_b32 m0, ttmp2
.LBB4_1464:                             ; =>This Inner Loop Header: Depth=1
	s_sethalt 5
	s_branch .LBB4_1464
.LBB4_1465:
	s_trap 2
	s_sendmsg_rtn_b32 s0, sendmsg(MSG_RTN_GET_DOORBELL)
	s_mov_b32 ttmp2, m0
	s_waitcnt lgkmcnt(0)
	s_and_b32 s0, s0, 0x3ff
	s_delay_alu instid0(SALU_CYCLE_1) | instskip(NEXT) | instid1(SALU_CYCLE_1)
	s_bitset1_b32 s0, 10
	s_mov_b32 m0, s0
	s_sendmsg sendmsg(MSG_INTERRUPT)
	s_mov_b32 m0, ttmp2
.LBB4_1466:                             ; =>This Inner Loop Header: Depth=1
	s_sethalt 5
	s_branch .LBB4_1466
.LBB4_1467:
	s_trap 2
	s_sendmsg_rtn_b32 s0, sendmsg(MSG_RTN_GET_DOORBELL)
	s_mov_b32 ttmp2, m0
	s_waitcnt lgkmcnt(0)
	s_and_b32 s0, s0, 0x3ff
	s_delay_alu instid0(SALU_CYCLE_1) | instskip(NEXT) | instid1(SALU_CYCLE_1)
	s_bitset1_b32 s0, 10
	s_mov_b32 m0, s0
	s_sendmsg sendmsg(MSG_INTERRUPT)
	s_mov_b32 m0, ttmp2
.LBB4_1468:                             ; =>This Inner Loop Header: Depth=1
	s_sethalt 5
	s_branch .LBB4_1468
.LBB4_1469:
	s_trap 2
	s_sendmsg_rtn_b32 s0, sendmsg(MSG_RTN_GET_DOORBELL)
	s_mov_b32 ttmp2, m0
	s_waitcnt lgkmcnt(0)
	s_and_b32 s0, s0, 0x3ff
	s_delay_alu instid0(SALU_CYCLE_1) | instskip(NEXT) | instid1(SALU_CYCLE_1)
	s_bitset1_b32 s0, 10
	s_mov_b32 m0, s0
	s_sendmsg sendmsg(MSG_INTERRUPT)
	s_mov_b32 m0, ttmp2
.LBB4_1470:                             ; =>This Inner Loop Header: Depth=1
	s_sethalt 5
	s_branch .LBB4_1470
.LBB4_1471:
	s_trap 2
	s_sendmsg_rtn_b32 s0, sendmsg(MSG_RTN_GET_DOORBELL)
	s_mov_b32 ttmp2, m0
	s_waitcnt lgkmcnt(0)
	s_and_b32 s0, s0, 0x3ff
	s_delay_alu instid0(SALU_CYCLE_1) | instskip(NEXT) | instid1(SALU_CYCLE_1)
	s_bitset1_b32 s0, 10
	s_mov_b32 m0, s0
	s_sendmsg sendmsg(MSG_INTERRUPT)
	s_mov_b32 m0, ttmp2
.LBB4_1472:                             ; =>This Inner Loop Header: Depth=1
	s_sethalt 5
	s_branch .LBB4_1472
.LBB4_1473:
	s_trap 2
	s_sendmsg_rtn_b32 s0, sendmsg(MSG_RTN_GET_DOORBELL)
	s_mov_b32 ttmp2, m0
	s_waitcnt lgkmcnt(0)
	s_and_b32 s0, s0, 0x3ff
	s_delay_alu instid0(SALU_CYCLE_1) | instskip(NEXT) | instid1(SALU_CYCLE_1)
	s_bitset1_b32 s0, 10
	s_mov_b32 m0, s0
	s_sendmsg sendmsg(MSG_INTERRUPT)
	s_mov_b32 m0, ttmp2
.LBB4_1474:                             ; =>This Inner Loop Header: Depth=1
	s_sethalt 5
	s_branch .LBB4_1474
.LBB4_1475:
	s_trap 2
	s_sendmsg_rtn_b32 s0, sendmsg(MSG_RTN_GET_DOORBELL)
	s_mov_b32 ttmp2, m0
	s_waitcnt lgkmcnt(0)
	s_and_b32 s0, s0, 0x3ff
	s_delay_alu instid0(SALU_CYCLE_1) | instskip(NEXT) | instid1(SALU_CYCLE_1)
	s_bitset1_b32 s0, 10
	s_mov_b32 m0, s0
	s_sendmsg sendmsg(MSG_INTERRUPT)
	s_mov_b32 m0, ttmp2
.LBB4_1476:                             ; =>This Inner Loop Header: Depth=1
	s_sethalt 5
	s_branch .LBB4_1476
.LBB4_1477:                             ;   in Loop: Header=BB4_1481 Depth=1
	s_or_b32 exec_lo, exec_lo, s10
	v_mov_b32_e32 v4, 0
	s_or_not1_b32 s7, s7, exec_lo
.LBB4_1478:                             ;   in Loop: Header=BB4_1481 Depth=1
	s_or_b32 exec_lo, exec_lo, s6
	s_delay_alu instid0(VALU_DEP_1)
	v_mov_b32_e32 v0, v4
	s_and_b32 s6, s7, exec_lo
.LBB4_1479:                             ;   in Loop: Header=BB4_1481 Depth=1
	s_or_b32 exec_lo, exec_lo, s5
	s_xor_b32 s5, s6, -1
	s_and_not1_b32 s3, s3, exec_lo
	s_and_b32 s5, s5, exec_lo
	s_delay_alu instid0(SALU_CYCLE_1)
	s_or_b32 s3, s3, s5
.LBB4_1480:                             ;   in Loop: Header=BB4_1481 Depth=1
	s_or_b32 exec_lo, exec_lo, s4
	s_delay_alu instid0(SALU_CYCLE_1) | instskip(NEXT) | instid1(SALU_CYCLE_1)
	s_and_b32 s4, exec_lo, s3
	s_or_b32 s2, s4, s2
	s_delay_alu instid0(SALU_CYCLE_1)
	s_and_not1_b32 exec_lo, exec_lo, s2
	s_cbranch_execz .LBB4_1494
.LBB4_1481:                             ; =>This Inner Loop Header: Depth=1
	flat_load_b64 v[4:5], v[2:3] glc dlc
	s_waitcnt vmcnt(0)
	s_or_b32 s3, s3, exec_lo
	s_mov_b32 s4, exec_lo
	s_waitcnt lgkmcnt(0)
	v_cmpx_ne_u64_e32 -1, v[4:5]
	s_cbranch_execz .LBB4_1480
; %bb.1482:                             ;   in Loop: Header=BB4_1481 Depth=1
	v_and_b32_e32 v4, 64, v30
	s_mov_b32 s6, 0
	s_mov_b32 s5, exec_lo
	s_delay_alu instid0(VALU_DEP_1)
	v_cmpx_eq_u32_e32 0, v4
	s_cbranch_execz .LBB4_1479
; %bb.1483:                             ;   in Loop: Header=BB4_1481 Depth=1
	v_add_nc_u32_e32 v4, 1, v0
	s_mov_b32 s7, -1
	s_mov_b32 s6, exec_lo
	v_cmpx_lt_i32_e32 0x270e, v0
	s_cbranch_execz .LBB4_1478
; %bb.1484:                             ;   in Loop: Header=BB4_1481 Depth=1
	s_cbranch_execnz .LBB4_1488
; %bb.1485:                             ;   in Loop: Header=BB4_1481 Depth=1
	ds_load_b64 v[4:5], v0
	s_mov_b32 s10, exec_lo
	s_waitcnt lgkmcnt(0)
	s_waitcnt_vscnt null, 0x0
	flat_load_b32 v0, v[4:5] glc
	s_waitcnt vmcnt(0) lgkmcnt(0)
	buffer_gl1_inv
	buffer_gl0_inv
	v_cmpx_ne_u32_e32 0, v0
	s_cbranch_execz .LBB4_1477
; %bb.1486:                             ;   in Loop: Header=BB4_1481 Depth=1
	ds_store_b32 v0, v0
	s_cbranch_execnz .LBB4_1512
; %bb.1487:                             ;   in Loop: Header=BB4_1481 Depth=1
	v_or_b32_e32 v30, 64, v30
	s_xor_b32 s7, exec_lo, -1
	s_branch .LBB4_1477
.LBB4_1488:
	s_trap 2
	s_sendmsg_rtn_b32 s0, sendmsg(MSG_RTN_GET_DOORBELL)
	s_mov_b32 ttmp2, m0
	s_waitcnt lgkmcnt(0)
	s_and_b32 s0, s0, 0x3ff
	s_delay_alu instid0(SALU_CYCLE_1) | instskip(NEXT) | instid1(SALU_CYCLE_1)
	s_bitset1_b32 s0, 10
	s_mov_b32 m0, s0
	s_sendmsg sendmsg(MSG_INTERRUPT)
	s_mov_b32 m0, ttmp2
.LBB4_1489:                             ; =>This Inner Loop Header: Depth=1
	s_sethalt 5
	s_branch .LBB4_1489
.LBB4_1490:
	s_trap 2
	s_sendmsg_rtn_b32 s0, sendmsg(MSG_RTN_GET_DOORBELL)
	s_mov_b32 ttmp2, m0
	s_waitcnt lgkmcnt(0)
	s_and_b32 s0, s0, 0x3ff
	s_delay_alu instid0(SALU_CYCLE_1) | instskip(NEXT) | instid1(SALU_CYCLE_1)
	s_bitset1_b32 s0, 10
	s_mov_b32 m0, s0
	s_sendmsg sendmsg(MSG_INTERRUPT)
	s_mov_b32 m0, ttmp2
.LBB4_1491:                             ; =>This Inner Loop Header: Depth=1
	s_sethalt 5
	s_branch .LBB4_1491
.LBB4_1492:
	s_trap 2
	s_sendmsg_rtn_b32 s0, sendmsg(MSG_RTN_GET_DOORBELL)
	s_mov_b32 ttmp2, m0
	s_waitcnt lgkmcnt(0)
	s_and_b32 s0, s0, 0x3ff
	s_delay_alu instid0(SALU_CYCLE_1) | instskip(NEXT) | instid1(SALU_CYCLE_1)
	s_bitset1_b32 s0, 10
	s_mov_b32 m0, s0
	s_sendmsg sendmsg(MSG_INTERRUPT)
	s_mov_b32 m0, ttmp2
.LBB4_1493:                             ; =>This Inner Loop Header: Depth=1
	s_sethalt 5
	s_branch .LBB4_1493
.LBB4_1494:
	s_or_b32 exec_lo, exec_lo, s2
.LBB4_1495:
	s_delay_alu instid0(SALU_CYCLE_1) | instskip(SKIP_2) | instid1(VALU_DEP_1)
	s_or_b32 exec_lo, exec_lo, s1
	v_and_b32_e32 v0, 0x2000, v30
	s_mov_b32 s1, exec_lo
	v_cmpx_ne_u32_e32 0, v0
	s_cbranch_execz .LBB4_1498
; %bb.1496:
	s_cbranch_execnz .LBB4_1506
; %bb.1497:
	ds_load_b64 v[2:3], v0
	s_waitcnt lgkmcnt(0)
	flat_store_b64 v[16:17], v[2:3] offset:16
.LBB4_1498:
	s_or_b32 exec_lo, exec_lo, s1
	v_cmp_ne_u32_e32 vcc_lo, 32, v1
	s_and_b32 exec_lo, exec_lo, vcc_lo
	s_cbranch_execz .LBB4_1697
; %bb.1499:
	s_mov_b32 s1, exec_lo
	v_cmpx_ne_u32_e64 v71, v1
	s_xor_b32 s1, exec_lo, s1
	s_cbranch_execz .LBB4_1695
; %bb.1500:
	v_and_b32_e32 v0, 31, v31
	s_mov_b32 s2, exec_lo
	s_delay_alu instid0(VALU_DEP_1)
	v_cmpx_eq_u32_e32 0, v0
	s_cbranch_execz .LBB4_1694
; %bb.1501:
	s_mov_b32 s4, exec_lo
	s_mov_b32 s3, exec_lo
	v_mbcnt_lo_u32_b32 v0, s4, 0
	s_waitcnt lgkmcnt(0)
	s_waitcnt_vscnt null, 0x0
	buffer_gl1_inv
	buffer_gl0_inv
	v_cmpx_eq_u32_e32 0, v0
	s_cbranch_execz .LBB4_1503
; %bb.1502:
	s_bcnt1_i32_b32 s4, s4
	s_delay_alu instid0(SALU_CYCLE_1)
	v_dual_mov_b32 v3, 0 :: v_dual_mov_b32 v2, s4
	ds_add_u64 v0, v[2:3]
	s_cbranch_execnz .LBB4_1541
.LBB4_1503:
	s_or_b32 exec_lo, exec_lo, s3
	s_cbranch_execnz .LBB4_1520
; %bb.1504:
	v_ashrrev_i32_e32 v0, 31, v1
	s_mov_b32 s3, exec_lo
	s_delay_alu instid0(VALU_DEP_1) | instskip(NEXT) | instid1(VALU_DEP_1)
	v_lshrrev_b32_e32 v0, 27, v0
	v_add_nc_u32_e32 v0, v1, v0
	ds_load_b64 v[2:3], v0
	v_ashrrev_i32_e32 v0, 5, v0
	s_delay_alu instid0(VALU_DEP_1) | instskip(SKIP_1) | instid1(VALU_DEP_2)
	v_ashrrev_i32_e32 v1, 31, v0
	v_add_co_u32 v0, vcc_lo, v12, v0
	v_add_co_ci_u32_e32 v1, vcc_lo, v13, v1, vcc_lo
	s_waitcnt lgkmcnt(0)
	s_delay_alu instid0(VALU_DEP_1)
	v_cmpx_lt_u64_e64 v[2:3], v[0:1]
	s_cbranch_execz .LBB4_1693
; %bb.1505:
	s_mov_b32 s4, 0
	s_mov_b32 s7, 0
                                        ; implicit-def: $sgpr5
                                        ; implicit-def: $sgpr6
	s_branch .LBB4_1527
.LBB4_1506:
	s_trap 2
	s_sendmsg_rtn_b32 s0, sendmsg(MSG_RTN_GET_DOORBELL)
	s_mov_b32 ttmp2, m0
	s_waitcnt lgkmcnt(0)
	s_and_b32 s0, s0, 0x3ff
	s_delay_alu instid0(SALU_CYCLE_1) | instskip(NEXT) | instid1(SALU_CYCLE_1)
	s_bitset1_b32 s0, 10
	s_mov_b32 m0, s0
	s_sendmsg sendmsg(MSG_INTERRUPT)
	s_mov_b32 m0, ttmp2
.LBB4_1507:                             ; =>This Inner Loop Header: Depth=1
	s_sethalt 5
	s_branch .LBB4_1507
.LBB4_1508:
	s_trap 2
	s_sendmsg_rtn_b32 s0, sendmsg(MSG_RTN_GET_DOORBELL)
	s_mov_b32 ttmp2, m0
	s_waitcnt lgkmcnt(0)
	s_and_b32 s0, s0, 0x3ff
	s_delay_alu instid0(SALU_CYCLE_1) | instskip(NEXT) | instid1(SALU_CYCLE_1)
	s_bitset1_b32 s0, 10
	s_mov_b32 m0, s0
	s_sendmsg sendmsg(MSG_INTERRUPT)
	s_mov_b32 m0, ttmp2
.LBB4_1509:                             ; =>This Inner Loop Header: Depth=1
	s_sethalt 5
	s_branch .LBB4_1509
.LBB4_1510:
	s_trap 2
	s_sendmsg_rtn_b32 s0, sendmsg(MSG_RTN_GET_DOORBELL)
	s_mov_b32 ttmp2, m0
	s_waitcnt lgkmcnt(0)
	s_and_b32 s0, s0, 0x3ff
	s_delay_alu instid0(SALU_CYCLE_1) | instskip(NEXT) | instid1(SALU_CYCLE_1)
	s_bitset1_b32 s0, 10
	s_mov_b32 m0, s0
	s_sendmsg sendmsg(MSG_INTERRUPT)
	s_mov_b32 m0, ttmp2
.LBB4_1511:                             ; =>This Inner Loop Header: Depth=1
	s_sethalt 5
	s_branch .LBB4_1511
.LBB4_1512:
	s_trap 2
	s_sendmsg_rtn_b32 s0, sendmsg(MSG_RTN_GET_DOORBELL)
	s_mov_b32 ttmp2, m0
	s_waitcnt lgkmcnt(0)
	s_and_b32 s0, s0, 0x3ff
	s_delay_alu instid0(SALU_CYCLE_1) | instskip(NEXT) | instid1(SALU_CYCLE_1)
	s_bitset1_b32 s0, 10
	s_mov_b32 m0, s0
	s_sendmsg sendmsg(MSG_INTERRUPT)
	s_mov_b32 m0, ttmp2
.LBB4_1513:                             ; =>This Inner Loop Header: Depth=1
	s_sethalt 5
	s_branch .LBB4_1513
.LBB4_1514:
	s_trap 2
	s_sendmsg_rtn_b32 s0, sendmsg(MSG_RTN_GET_DOORBELL)
	s_mov_b32 ttmp2, m0
	s_waitcnt lgkmcnt(0)
	s_and_b32 s0, s0, 0x3ff
	s_delay_alu instid0(SALU_CYCLE_1) | instskip(NEXT) | instid1(SALU_CYCLE_1)
	s_bitset1_b32 s0, 10
	s_mov_b32 m0, s0
	s_sendmsg sendmsg(MSG_INTERRUPT)
	s_mov_b32 m0, ttmp2
.LBB4_1515:                             ; =>This Inner Loop Header: Depth=1
	s_sethalt 5
	s_branch .LBB4_1515
.LBB4_1516:
	s_trap 2
	s_sendmsg_rtn_b32 s0, sendmsg(MSG_RTN_GET_DOORBELL)
	s_mov_b32 ttmp2, m0
	s_waitcnt lgkmcnt(0)
	s_and_b32 s0, s0, 0x3ff
	s_delay_alu instid0(SALU_CYCLE_1) | instskip(NEXT) | instid1(SALU_CYCLE_1)
	s_bitset1_b32 s0, 10
	s_mov_b32 m0, s0
	s_sendmsg sendmsg(MSG_INTERRUPT)
	s_mov_b32 m0, ttmp2
.LBB4_1517:                             ; =>This Inner Loop Header: Depth=1
	s_sethalt 5
	s_branch .LBB4_1517
.LBB4_1518:
	s_trap 2
	s_sendmsg_rtn_b32 s0, sendmsg(MSG_RTN_GET_DOORBELL)
	s_mov_b32 ttmp2, m0
	s_waitcnt lgkmcnt(0)
	s_and_b32 s0, s0, 0x3ff
	s_delay_alu instid0(SALU_CYCLE_1) | instskip(NEXT) | instid1(SALU_CYCLE_1)
	s_bitset1_b32 s0, 10
	s_mov_b32 m0, s0
	s_sendmsg sendmsg(MSG_INTERRUPT)
	s_mov_b32 m0, ttmp2
.LBB4_1519:                             ; =>This Inner Loop Header: Depth=1
	s_sethalt 5
	s_branch .LBB4_1519
.LBB4_1520:
	s_trap 2
	s_sendmsg_rtn_b32 s0, sendmsg(MSG_RTN_GET_DOORBELL)
	s_mov_b32 ttmp2, m0
	s_waitcnt lgkmcnt(0)
	s_and_b32 s0, s0, 0x3ff
	s_delay_alu instid0(SALU_CYCLE_1) | instskip(NEXT) | instid1(SALU_CYCLE_1)
	s_bitset1_b32 s0, 10
	s_mov_b32 m0, s0
	s_sendmsg sendmsg(MSG_INTERRUPT)
	s_mov_b32 m0, ttmp2
.LBB4_1521:                             ; =>This Inner Loop Header: Depth=1
	s_sethalt 5
	s_branch .LBB4_1521
.LBB4_1522:
	s_trap 2
	s_sendmsg_rtn_b32 s0, sendmsg(MSG_RTN_GET_DOORBELL)
	s_mov_b32 ttmp2, m0
	s_waitcnt lgkmcnt(0)
	s_and_b32 s0, s0, 0x3ff
	s_delay_alu instid0(SALU_CYCLE_1) | instskip(NEXT) | instid1(SALU_CYCLE_1)
	s_bitset1_b32 s0, 10
	s_mov_b32 m0, s0
	s_sendmsg sendmsg(MSG_INTERRUPT)
	s_mov_b32 m0, ttmp2
.LBB4_1523:                             ; =>This Inner Loop Header: Depth=1
	s_sethalt 5
	s_branch .LBB4_1523
.LBB4_1524:
	s_trap 2
	s_sendmsg_rtn_b32 s0, sendmsg(MSG_RTN_GET_DOORBELL)
	s_mov_b32 ttmp2, m0
	s_waitcnt lgkmcnt(0)
	s_and_b32 s0, s0, 0x3ff
	s_delay_alu instid0(SALU_CYCLE_1) | instskip(NEXT) | instid1(SALU_CYCLE_1)
	s_bitset1_b32 s0, 10
	s_mov_b32 m0, s0
	s_sendmsg sendmsg(MSG_INTERRUPT)
	s_mov_b32 m0, ttmp2
.LBB4_1525:                             ; =>This Inner Loop Header: Depth=1
	s_sethalt 5
	s_branch .LBB4_1525
.LBB4_1526:                             ;   in Loop: Header=BB4_1527 Depth=1
	s_or_b32 exec_lo, exec_lo, s12
	s_delay_alu instid0(SALU_CYCLE_1) | instskip(NEXT) | instid1(SALU_CYCLE_1)
	s_and_b32 s10, exec_lo, s11
	s_or_b32 s4, s10, s4
	s_and_not1_b32 s5, s5, exec_lo
	s_and_b32 s10, s6, exec_lo
	s_delay_alu instid0(SALU_CYCLE_1)
	s_or_b32 s5, s5, s10
	s_and_not1_b32 exec_lo, exec_lo, s4
	s_cbranch_execz .LBB4_1691
.LBB4_1527:                             ; =>This Inner Loop Header: Depth=1
	s_add_i32 s7, s7, 1
                                        ; implicit-def: $sgpr11
	s_delay_alu instid0(SALU_CYCLE_1) | instskip(SKIP_1) | instid1(SALU_CYCLE_1)
	s_cmpk_lg_i32 s7, 0x2710
	s_cselect_b32 s10, -1, 0
	s_and_b32 vcc_lo, exec_lo, s10
	s_cbranch_vccz .LBB4_1531
.LBB4_1528:                             ;   in Loop: Header=BB4_1527 Depth=1
	s_and_not1_b32 s6, s6, exec_lo
	s_and_b32 s12, s11, exec_lo
	s_mov_b32 s11, -1
	s_or_b32 s6, s6, s12
	s_and_saveexec_b32 s12, s10
	s_cbranch_execz .LBB4_1526
; %bb.1529:                             ;   in Loop: Header=BB4_1527 Depth=1
	s_sleep 1
	s_cbranch_execnz .LBB4_1579
; %bb.1530:                             ;   in Loop: Header=BB4_1527 Depth=1
	ds_load_b64 v[2:3], v0
	s_and_not1_b32 s6, s6, exec_lo
	s_waitcnt lgkmcnt(0)
	v_cmp_ge_u64_e32 vcc_lo, v[2:3], v[0:1]
	s_or_not1_b32 s11, vcc_lo, exec_lo
	s_branch .LBB4_1526
.LBB4_1531:                             ;   in Loop: Header=BB4_1527 Depth=1
	s_cbranch_execnz .LBB4_1581
; %bb.1532:                             ;   in Loop: Header=BB4_1527 Depth=1
	ds_load_b64 v[2:3], v0
	s_and_not1_b32 s10, s10, exec_lo
	s_mov_b32 s7, 0
	s_mov_b32 s11, -1
	s_waitcnt lgkmcnt(0)
	flat_load_b32 v2, v[2:3] glc
	s_waitcnt vmcnt(0) lgkmcnt(0)
	buffer_gl1_inv
	buffer_gl0_inv
	v_cmp_eq_u32_e32 vcc_lo, 0, v2
	s_and_b32 s12, vcc_lo, exec_lo
	s_delay_alu instid0(SALU_CYCLE_1)
	s_or_b32 s10, s10, s12
	s_branch .LBB4_1528
.LBB4_1533:
	s_trap 2
	s_sendmsg_rtn_b32 s0, sendmsg(MSG_RTN_GET_DOORBELL)
	s_mov_b32 ttmp2, m0
	s_waitcnt lgkmcnt(0)
	s_and_b32 s0, s0, 0x3ff
	s_delay_alu instid0(SALU_CYCLE_1) | instskip(NEXT) | instid1(SALU_CYCLE_1)
	s_bitset1_b32 s0, 10
	s_mov_b32 m0, s0
	s_sendmsg sendmsg(MSG_INTERRUPT)
	s_mov_b32 m0, ttmp2
.LBB4_1534:                             ; =>This Inner Loop Header: Depth=1
	s_sethalt 5
	s_branch .LBB4_1534
.LBB4_1535:
	s_trap 2
	s_sendmsg_rtn_b32 s0, sendmsg(MSG_RTN_GET_DOORBELL)
	s_mov_b32 ttmp2, m0
	s_waitcnt lgkmcnt(0)
	s_and_b32 s0, s0, 0x3ff
	s_delay_alu instid0(SALU_CYCLE_1) | instskip(NEXT) | instid1(SALU_CYCLE_1)
	s_bitset1_b32 s0, 10
	s_mov_b32 m0, s0
	s_sendmsg sendmsg(MSG_INTERRUPT)
	s_mov_b32 m0, ttmp2
.LBB4_1536:                             ; =>This Inner Loop Header: Depth=1
	s_sethalt 5
	s_branch .LBB4_1536
.LBB4_1537:
	s_trap 2
	s_sendmsg_rtn_b32 s0, sendmsg(MSG_RTN_GET_DOORBELL)
	s_mov_b32 ttmp2, m0
	s_waitcnt lgkmcnt(0)
	s_and_b32 s0, s0, 0x3ff
	s_delay_alu instid0(SALU_CYCLE_1) | instskip(NEXT) | instid1(SALU_CYCLE_1)
	s_bitset1_b32 s0, 10
	s_mov_b32 m0, s0
	s_sendmsg sendmsg(MSG_INTERRUPT)
	s_mov_b32 m0, ttmp2
.LBB4_1538:                             ; =>This Inner Loop Header: Depth=1
	s_sethalt 5
	s_branch .LBB4_1538
.LBB4_1539:
	s_trap 2
	s_sendmsg_rtn_b32 s0, sendmsg(MSG_RTN_GET_DOORBELL)
	s_mov_b32 ttmp2, m0
	s_waitcnt lgkmcnt(0)
	s_and_b32 s0, s0, 0x3ff
	s_delay_alu instid0(SALU_CYCLE_1) | instskip(NEXT) | instid1(SALU_CYCLE_1)
	s_bitset1_b32 s0, 10
	s_mov_b32 m0, s0
	s_sendmsg sendmsg(MSG_INTERRUPT)
	s_mov_b32 m0, ttmp2
.LBB4_1540:                             ; =>This Inner Loop Header: Depth=1
	s_sethalt 5
	s_branch .LBB4_1540
.LBB4_1541:
	s_trap 2
	s_sendmsg_rtn_b32 s0, sendmsg(MSG_RTN_GET_DOORBELL)
	s_mov_b32 ttmp2, m0
	s_waitcnt lgkmcnt(0)
	s_and_b32 s0, s0, 0x3ff
	s_delay_alu instid0(SALU_CYCLE_1) | instskip(NEXT) | instid1(SALU_CYCLE_1)
	s_bitset1_b32 s0, 10
	s_mov_b32 m0, s0
	s_sendmsg sendmsg(MSG_INTERRUPT)
	s_mov_b32 m0, ttmp2
.LBB4_1542:                             ; =>This Inner Loop Header: Depth=1
	s_sethalt 5
	s_branch .LBB4_1542
.LBB4_1543:
	s_trap 2
	s_sendmsg_rtn_b32 s0, sendmsg(MSG_RTN_GET_DOORBELL)
	s_mov_b32 ttmp2, m0
	s_waitcnt lgkmcnt(0)
	s_and_b32 s0, s0, 0x3ff
	s_delay_alu instid0(SALU_CYCLE_1) | instskip(NEXT) | instid1(SALU_CYCLE_1)
	s_bitset1_b32 s0, 10
	s_mov_b32 m0, s0
	s_sendmsg sendmsg(MSG_INTERRUPT)
	s_mov_b32 m0, ttmp2
.LBB4_1544:                             ; =>This Inner Loop Header: Depth=1
	s_sethalt 5
	s_branch .LBB4_1544
.LBB4_1545:
	s_trap 2
	s_sendmsg_rtn_b32 s0, sendmsg(MSG_RTN_GET_DOORBELL)
	s_mov_b32 ttmp2, m0
	s_waitcnt lgkmcnt(0)
	s_and_b32 s0, s0, 0x3ff
	s_delay_alu instid0(SALU_CYCLE_1) | instskip(NEXT) | instid1(SALU_CYCLE_1)
	s_bitset1_b32 s0, 10
	s_mov_b32 m0, s0
	s_sendmsg sendmsg(MSG_INTERRUPT)
	s_mov_b32 m0, ttmp2
.LBB4_1546:                             ; =>This Inner Loop Header: Depth=1
	s_sethalt 5
	s_branch .LBB4_1546
.LBB4_1547:
	s_trap 2
	s_sendmsg_rtn_b32 s0, sendmsg(MSG_RTN_GET_DOORBELL)
	s_mov_b32 ttmp2, m0
	s_waitcnt lgkmcnt(0)
	s_and_b32 s0, s0, 0x3ff
	s_delay_alu instid0(SALU_CYCLE_1) | instskip(NEXT) | instid1(SALU_CYCLE_1)
	s_bitset1_b32 s0, 10
	s_mov_b32 m0, s0
	s_sendmsg sendmsg(MSG_INTERRUPT)
	s_mov_b32 m0, ttmp2
.LBB4_1548:                             ; =>This Inner Loop Header: Depth=1
	s_sethalt 5
	s_branch .LBB4_1548
.LBB4_1549:
	s_trap 2
	s_sendmsg_rtn_b32 s0, sendmsg(MSG_RTN_GET_DOORBELL)
	s_mov_b32 ttmp2, m0
	s_waitcnt lgkmcnt(0)
	s_and_b32 s0, s0, 0x3ff
	s_delay_alu instid0(SALU_CYCLE_1) | instskip(NEXT) | instid1(SALU_CYCLE_1)
	s_bitset1_b32 s0, 10
	s_mov_b32 m0, s0
	s_sendmsg sendmsg(MSG_INTERRUPT)
	s_mov_b32 m0, ttmp2
.LBB4_1550:                             ; =>This Inner Loop Header: Depth=1
	s_sethalt 5
	s_branch .LBB4_1550
.LBB4_1551:
	s_trap 2
	s_sendmsg_rtn_b32 s0, sendmsg(MSG_RTN_GET_DOORBELL)
	s_mov_b32 ttmp2, m0
	s_waitcnt lgkmcnt(0)
	s_and_b32 s0, s0, 0x3ff
	s_delay_alu instid0(SALU_CYCLE_1) | instskip(NEXT) | instid1(SALU_CYCLE_1)
	s_bitset1_b32 s0, 10
	s_mov_b32 m0, s0
	s_sendmsg sendmsg(MSG_INTERRUPT)
	s_mov_b32 m0, ttmp2
.LBB4_1552:                             ; =>This Inner Loop Header: Depth=1
	s_sethalt 5
	s_branch .LBB4_1552
.LBB4_1553:
	s_trap 2
	s_sendmsg_rtn_b32 s0, sendmsg(MSG_RTN_GET_DOORBELL)
	s_mov_b32 ttmp2, m0
	s_waitcnt lgkmcnt(0)
	s_and_b32 s0, s0, 0x3ff
	s_delay_alu instid0(SALU_CYCLE_1) | instskip(NEXT) | instid1(SALU_CYCLE_1)
	s_bitset1_b32 s0, 10
	s_mov_b32 m0, s0
	s_sendmsg sendmsg(MSG_INTERRUPT)
	s_mov_b32 m0, ttmp2
.LBB4_1554:                             ; =>This Inner Loop Header: Depth=1
	s_sethalt 5
	s_branch .LBB4_1554
.LBB4_1555:
	s_trap 2
	s_sendmsg_rtn_b32 s0, sendmsg(MSG_RTN_GET_DOORBELL)
	s_mov_b32 ttmp2, m0
	s_waitcnt lgkmcnt(0)
	s_and_b32 s0, s0, 0x3ff
	s_delay_alu instid0(SALU_CYCLE_1) | instskip(NEXT) | instid1(SALU_CYCLE_1)
	s_bitset1_b32 s0, 10
	s_mov_b32 m0, s0
	s_sendmsg sendmsg(MSG_INTERRUPT)
	s_mov_b32 m0, ttmp2
.LBB4_1556:                             ; =>This Inner Loop Header: Depth=1
	s_sethalt 5
	s_branch .LBB4_1556
.LBB4_1557:
	s_trap 2
	s_sendmsg_rtn_b32 s0, sendmsg(MSG_RTN_GET_DOORBELL)
	s_mov_b32 ttmp2, m0
	s_waitcnt lgkmcnt(0)
	s_and_b32 s0, s0, 0x3ff
	s_delay_alu instid0(SALU_CYCLE_1) | instskip(NEXT) | instid1(SALU_CYCLE_1)
	s_bitset1_b32 s0, 10
	s_mov_b32 m0, s0
	s_sendmsg sendmsg(MSG_INTERRUPT)
	s_mov_b32 m0, ttmp2
.LBB4_1558:                             ; =>This Inner Loop Header: Depth=1
	s_sethalt 5
	s_branch .LBB4_1558
.LBB4_1559:
	s_trap 2
	s_sendmsg_rtn_b32 s0, sendmsg(MSG_RTN_GET_DOORBELL)
	s_mov_b32 ttmp2, m0
	s_waitcnt lgkmcnt(0)
	s_and_b32 s0, s0, 0x3ff
	s_delay_alu instid0(SALU_CYCLE_1) | instskip(NEXT) | instid1(SALU_CYCLE_1)
	s_bitset1_b32 s0, 10
	s_mov_b32 m0, s0
	s_sendmsg sendmsg(MSG_INTERRUPT)
	s_mov_b32 m0, ttmp2
.LBB4_1560:                             ; =>This Inner Loop Header: Depth=1
	s_sethalt 5
	s_branch .LBB4_1560
.LBB4_1561:
	s_trap 2
	s_sendmsg_rtn_b32 s0, sendmsg(MSG_RTN_GET_DOORBELL)
	s_mov_b32 ttmp2, m0
	s_waitcnt lgkmcnt(0)
	s_and_b32 s0, s0, 0x3ff
	s_delay_alu instid0(SALU_CYCLE_1) | instskip(NEXT) | instid1(SALU_CYCLE_1)
	s_bitset1_b32 s0, 10
	s_mov_b32 m0, s0
	s_sendmsg sendmsg(MSG_INTERRUPT)
	s_mov_b32 m0, ttmp2
.LBB4_1562:                             ; =>This Inner Loop Header: Depth=1
	s_sethalt 5
	s_branch .LBB4_1562
.LBB4_1563:
	s_trap 2
	s_sendmsg_rtn_b32 s0, sendmsg(MSG_RTN_GET_DOORBELL)
	s_mov_b32 ttmp2, m0
	s_waitcnt lgkmcnt(0)
	s_and_b32 s0, s0, 0x3ff
	s_delay_alu instid0(SALU_CYCLE_1) | instskip(NEXT) | instid1(SALU_CYCLE_1)
	s_bitset1_b32 s0, 10
	s_mov_b32 m0, s0
	s_sendmsg sendmsg(MSG_INTERRUPT)
	s_mov_b32 m0, ttmp2
.LBB4_1564:                             ; =>This Inner Loop Header: Depth=1
	s_sethalt 5
	s_branch .LBB4_1564
.LBB4_1565:
	s_trap 2
	s_sendmsg_rtn_b32 s0, sendmsg(MSG_RTN_GET_DOORBELL)
	s_mov_b32 ttmp2, m0
	s_waitcnt lgkmcnt(0)
	s_and_b32 s0, s0, 0x3ff
	s_delay_alu instid0(SALU_CYCLE_1) | instskip(NEXT) | instid1(SALU_CYCLE_1)
	s_bitset1_b32 s0, 10
	s_mov_b32 m0, s0
	s_sendmsg sendmsg(MSG_INTERRUPT)
	s_mov_b32 m0, ttmp2
.LBB4_1566:                             ; =>This Inner Loop Header: Depth=1
	s_sethalt 5
	s_branch .LBB4_1566
.LBB4_1567:
	s_trap 2
	s_sendmsg_rtn_b32 s0, sendmsg(MSG_RTN_GET_DOORBELL)
	s_mov_b32 ttmp2, m0
	s_waitcnt lgkmcnt(0)
	s_and_b32 s0, s0, 0x3ff
	s_delay_alu instid0(SALU_CYCLE_1) | instskip(NEXT) | instid1(SALU_CYCLE_1)
	s_bitset1_b32 s0, 10
	s_mov_b32 m0, s0
	s_sendmsg sendmsg(MSG_INTERRUPT)
	s_mov_b32 m0, ttmp2
.LBB4_1568:                             ; =>This Inner Loop Header: Depth=1
	s_sethalt 5
	s_branch .LBB4_1568
.LBB4_1569:
	s_trap 2
	s_sendmsg_rtn_b32 s0, sendmsg(MSG_RTN_GET_DOORBELL)
	s_mov_b32 ttmp2, m0
	s_waitcnt lgkmcnt(0)
	s_and_b32 s0, s0, 0x3ff
	s_delay_alu instid0(SALU_CYCLE_1) | instskip(NEXT) | instid1(SALU_CYCLE_1)
	s_bitset1_b32 s0, 10
	s_mov_b32 m0, s0
	s_sendmsg sendmsg(MSG_INTERRUPT)
	s_mov_b32 m0, ttmp2
.LBB4_1570:                             ; =>This Inner Loop Header: Depth=1
	s_sethalt 5
	s_branch .LBB4_1570
.LBB4_1571:
	s_trap 2
	s_sendmsg_rtn_b32 s0, sendmsg(MSG_RTN_GET_DOORBELL)
	s_mov_b32 ttmp2, m0
	s_waitcnt lgkmcnt(0)
	s_and_b32 s0, s0, 0x3ff
	s_delay_alu instid0(SALU_CYCLE_1) | instskip(NEXT) | instid1(SALU_CYCLE_1)
	s_bitset1_b32 s0, 10
	s_mov_b32 m0, s0
	s_sendmsg sendmsg(MSG_INTERRUPT)
	s_mov_b32 m0, ttmp2
.LBB4_1572:                             ; =>This Inner Loop Header: Depth=1
	s_sethalt 5
	s_branch .LBB4_1572
.LBB4_1573:
	s_trap 2
	s_sendmsg_rtn_b32 s0, sendmsg(MSG_RTN_GET_DOORBELL)
	s_mov_b32 ttmp2, m0
	s_waitcnt lgkmcnt(0)
	s_and_b32 s0, s0, 0x3ff
	s_delay_alu instid0(SALU_CYCLE_1) | instskip(NEXT) | instid1(SALU_CYCLE_1)
	s_bitset1_b32 s0, 10
	s_mov_b32 m0, s0
	s_sendmsg sendmsg(MSG_INTERRUPT)
	s_mov_b32 m0, ttmp2
.LBB4_1574:                             ; =>This Inner Loop Header: Depth=1
	s_sethalt 5
	s_branch .LBB4_1574
.LBB4_1575:
	s_trap 2
	s_sendmsg_rtn_b32 s0, sendmsg(MSG_RTN_GET_DOORBELL)
	s_mov_b32 ttmp2, m0
	s_waitcnt lgkmcnt(0)
	s_and_b32 s0, s0, 0x3ff
	s_delay_alu instid0(SALU_CYCLE_1) | instskip(NEXT) | instid1(SALU_CYCLE_1)
	s_bitset1_b32 s0, 10
	s_mov_b32 m0, s0
	s_sendmsg sendmsg(MSG_INTERRUPT)
	s_mov_b32 m0, ttmp2
.LBB4_1576:                             ; =>This Inner Loop Header: Depth=1
	s_sethalt 5
	s_branch .LBB4_1576
.LBB4_1577:
	s_trap 2
	s_sendmsg_rtn_b32 s0, sendmsg(MSG_RTN_GET_DOORBELL)
	s_mov_b32 ttmp2, m0
	s_waitcnt lgkmcnt(0)
	s_and_b32 s0, s0, 0x3ff
	s_delay_alu instid0(SALU_CYCLE_1) | instskip(NEXT) | instid1(SALU_CYCLE_1)
	s_bitset1_b32 s0, 10
	s_mov_b32 m0, s0
	s_sendmsg sendmsg(MSG_INTERRUPT)
	s_mov_b32 m0, ttmp2
.LBB4_1578:                             ; =>This Inner Loop Header: Depth=1
	s_sethalt 5
	s_branch .LBB4_1578
.LBB4_1579:
	s_trap 2
	s_sendmsg_rtn_b32 s0, sendmsg(MSG_RTN_GET_DOORBELL)
	s_mov_b32 ttmp2, m0
	s_waitcnt lgkmcnt(0)
	s_and_b32 s0, s0, 0x3ff
	s_delay_alu instid0(SALU_CYCLE_1) | instskip(NEXT) | instid1(SALU_CYCLE_1)
	s_bitset1_b32 s0, 10
	s_mov_b32 m0, s0
	s_sendmsg sendmsg(MSG_INTERRUPT)
	s_mov_b32 m0, ttmp2
.LBB4_1580:                             ; =>This Inner Loop Header: Depth=1
	s_sethalt 5
	s_branch .LBB4_1580
.LBB4_1581:
	s_trap 2
	s_sendmsg_rtn_b32 s0, sendmsg(MSG_RTN_GET_DOORBELL)
	s_mov_b32 ttmp2, m0
	s_waitcnt lgkmcnt(0)
	s_and_b32 s0, s0, 0x3ff
	s_delay_alu instid0(SALU_CYCLE_1) | instskip(NEXT) | instid1(SALU_CYCLE_1)
	s_bitset1_b32 s0, 10
	s_mov_b32 m0, s0
	s_sendmsg sendmsg(MSG_INTERRUPT)
	s_mov_b32 m0, ttmp2
.LBB4_1582:                             ; =>This Inner Loop Header: Depth=1
	s_sethalt 5
	s_branch .LBB4_1582
.LBB4_1583:
	s_trap 2
	s_sendmsg_rtn_b32 s0, sendmsg(MSG_RTN_GET_DOORBELL)
	s_mov_b32 ttmp2, m0
	s_waitcnt lgkmcnt(0)
	s_and_b32 s0, s0, 0x3ff
	s_delay_alu instid0(SALU_CYCLE_1) | instskip(NEXT) | instid1(SALU_CYCLE_1)
	s_bitset1_b32 s0, 10
	s_mov_b32 m0, s0
	s_sendmsg sendmsg(MSG_INTERRUPT)
	s_mov_b32 m0, ttmp2
.LBB4_1584:                             ; =>This Inner Loop Header: Depth=1
	s_sethalt 5
	s_branch .LBB4_1584
.LBB4_1585:
	s_trap 2
	s_sendmsg_rtn_b32 s0, sendmsg(MSG_RTN_GET_DOORBELL)
	s_mov_b32 ttmp2, m0
	s_waitcnt lgkmcnt(0)
	s_and_b32 s0, s0, 0x3ff
	s_delay_alu instid0(SALU_CYCLE_1) | instskip(NEXT) | instid1(SALU_CYCLE_1)
	s_bitset1_b32 s0, 10
	s_mov_b32 m0, s0
	s_sendmsg sendmsg(MSG_INTERRUPT)
	s_mov_b32 m0, ttmp2
.LBB4_1586:                             ; =>This Inner Loop Header: Depth=1
	s_sethalt 5
	s_branch .LBB4_1586
.LBB4_1587:
	s_trap 2
	s_sendmsg_rtn_b32 s0, sendmsg(MSG_RTN_GET_DOORBELL)
	s_mov_b32 ttmp2, m0
	s_waitcnt lgkmcnt(0)
	s_and_b32 s0, s0, 0x3ff
	s_delay_alu instid0(SALU_CYCLE_1) | instskip(NEXT) | instid1(SALU_CYCLE_1)
	s_bitset1_b32 s0, 10
	s_mov_b32 m0, s0
	s_sendmsg sendmsg(MSG_INTERRUPT)
	s_mov_b32 m0, ttmp2
.LBB4_1588:                             ; =>This Inner Loop Header: Depth=1
	s_sethalt 5
	s_branch .LBB4_1588
.LBB4_1589:
	s_trap 2
	s_sendmsg_rtn_b32 s0, sendmsg(MSG_RTN_GET_DOORBELL)
	s_mov_b32 ttmp2, m0
	s_waitcnt lgkmcnt(0)
	s_and_b32 s0, s0, 0x3ff
	s_delay_alu instid0(SALU_CYCLE_1) | instskip(NEXT) | instid1(SALU_CYCLE_1)
	s_bitset1_b32 s0, 10
	s_mov_b32 m0, s0
	s_sendmsg sendmsg(MSG_INTERRUPT)
	s_mov_b32 m0, ttmp2
.LBB4_1590:                             ; =>This Inner Loop Header: Depth=1
	s_sethalt 5
	s_branch .LBB4_1590
.LBB4_1591:
	s_trap 2
	s_sendmsg_rtn_b32 s0, sendmsg(MSG_RTN_GET_DOORBELL)
	s_mov_b32 ttmp2, m0
	s_waitcnt lgkmcnt(0)
	s_and_b32 s0, s0, 0x3ff
	s_delay_alu instid0(SALU_CYCLE_1) | instskip(NEXT) | instid1(SALU_CYCLE_1)
	s_bitset1_b32 s0, 10
	s_mov_b32 m0, s0
	s_sendmsg sendmsg(MSG_INTERRUPT)
	s_mov_b32 m0, ttmp2
.LBB4_1592:                             ; =>This Inner Loop Header: Depth=1
	s_sethalt 5
	s_branch .LBB4_1592
.LBB4_1593:
	s_trap 2
	s_sendmsg_rtn_b32 s0, sendmsg(MSG_RTN_GET_DOORBELL)
	s_mov_b32 ttmp2, m0
	s_waitcnt lgkmcnt(0)
	s_and_b32 s0, s0, 0x3ff
	s_delay_alu instid0(SALU_CYCLE_1) | instskip(NEXT) | instid1(SALU_CYCLE_1)
	s_bitset1_b32 s0, 10
	s_mov_b32 m0, s0
	s_sendmsg sendmsg(MSG_INTERRUPT)
	s_mov_b32 m0, ttmp2
.LBB4_1594:                             ; =>This Inner Loop Header: Depth=1
	s_sethalt 5
	s_branch .LBB4_1594
.LBB4_1595:
	s_trap 2
	s_sendmsg_rtn_b32 s0, sendmsg(MSG_RTN_GET_DOORBELL)
	s_mov_b32 ttmp2, m0
	s_waitcnt lgkmcnt(0)
	s_and_b32 s0, s0, 0x3ff
	s_delay_alu instid0(SALU_CYCLE_1) | instskip(NEXT) | instid1(SALU_CYCLE_1)
	s_bitset1_b32 s0, 10
	s_mov_b32 m0, s0
	s_sendmsg sendmsg(MSG_INTERRUPT)
	s_mov_b32 m0, ttmp2
.LBB4_1596:                             ; =>This Inner Loop Header: Depth=1
	s_sethalt 5
	s_branch .LBB4_1596
.LBB4_1597:
	s_trap 2
	s_sendmsg_rtn_b32 s0, sendmsg(MSG_RTN_GET_DOORBELL)
	s_mov_b32 ttmp2, m0
	s_waitcnt lgkmcnt(0)
	s_and_b32 s0, s0, 0x3ff
	s_delay_alu instid0(SALU_CYCLE_1) | instskip(NEXT) | instid1(SALU_CYCLE_1)
	s_bitset1_b32 s0, 10
	s_mov_b32 m0, s0
	s_sendmsg sendmsg(MSG_INTERRUPT)
	s_mov_b32 m0, ttmp2
.LBB4_1598:                             ; =>This Inner Loop Header: Depth=1
	s_sethalt 5
	s_branch .LBB4_1598
.LBB4_1599:
	s_trap 2
	s_sendmsg_rtn_b32 s0, sendmsg(MSG_RTN_GET_DOORBELL)
	s_mov_b32 ttmp2, m0
	s_waitcnt lgkmcnt(0)
	s_and_b32 s0, s0, 0x3ff
	s_delay_alu instid0(SALU_CYCLE_1) | instskip(NEXT) | instid1(SALU_CYCLE_1)
	s_bitset1_b32 s0, 10
	s_mov_b32 m0, s0
	s_sendmsg sendmsg(MSG_INTERRUPT)
	s_mov_b32 m0, ttmp2
.LBB4_1600:                             ; =>This Inner Loop Header: Depth=1
	s_sethalt 5
	s_branch .LBB4_1600
.LBB4_1601:
	s_trap 2
	s_sendmsg_rtn_b32 s0, sendmsg(MSG_RTN_GET_DOORBELL)
	s_mov_b32 ttmp2, m0
	s_waitcnt lgkmcnt(0)
	s_and_b32 s0, s0, 0x3ff
	s_delay_alu instid0(SALU_CYCLE_1) | instskip(NEXT) | instid1(SALU_CYCLE_1)
	s_bitset1_b32 s0, 10
	s_mov_b32 m0, s0
	s_sendmsg sendmsg(MSG_INTERRUPT)
	s_mov_b32 m0, ttmp2
.LBB4_1602:                             ; =>This Inner Loop Header: Depth=1
	s_sethalt 5
	s_branch .LBB4_1602
.LBB4_1603:
	s_trap 2
	s_sendmsg_rtn_b32 s0, sendmsg(MSG_RTN_GET_DOORBELL)
	s_mov_b32 ttmp2, m0
	s_waitcnt lgkmcnt(0)
	s_and_b32 s0, s0, 0x3ff
	s_delay_alu instid0(SALU_CYCLE_1) | instskip(NEXT) | instid1(SALU_CYCLE_1)
	s_bitset1_b32 s0, 10
	s_mov_b32 m0, s0
	s_sendmsg sendmsg(MSG_INTERRUPT)
	s_mov_b32 m0, ttmp2
.LBB4_1604:                             ; =>This Inner Loop Header: Depth=1
	s_sethalt 5
	s_branch .LBB4_1604
.LBB4_1605:
	s_trap 2
	s_sendmsg_rtn_b32 s0, sendmsg(MSG_RTN_GET_DOORBELL)
	s_mov_b32 ttmp2, m0
	s_waitcnt lgkmcnt(0)
	s_and_b32 s0, s0, 0x3ff
	s_delay_alu instid0(SALU_CYCLE_1) | instskip(NEXT) | instid1(SALU_CYCLE_1)
	s_bitset1_b32 s0, 10
	s_mov_b32 m0, s0
	s_sendmsg sendmsg(MSG_INTERRUPT)
	s_mov_b32 m0, ttmp2
.LBB4_1606:                             ; =>This Inner Loop Header: Depth=1
	s_sethalt 5
	s_branch .LBB4_1606
.LBB4_1607:
	s_trap 2
	s_sendmsg_rtn_b32 s0, sendmsg(MSG_RTN_GET_DOORBELL)
	s_mov_b32 ttmp2, m0
	s_waitcnt lgkmcnt(0)
	s_and_b32 s0, s0, 0x3ff
	s_delay_alu instid0(SALU_CYCLE_1) | instskip(NEXT) | instid1(SALU_CYCLE_1)
	s_bitset1_b32 s0, 10
	s_mov_b32 m0, s0
	s_sendmsg sendmsg(MSG_INTERRUPT)
	s_mov_b32 m0, ttmp2
.LBB4_1608:                             ; =>This Inner Loop Header: Depth=1
	s_sethalt 5
	s_branch .LBB4_1608
.LBB4_1609:
	s_trap 2
	s_sendmsg_rtn_b32 s0, sendmsg(MSG_RTN_GET_DOORBELL)
	s_mov_b32 ttmp2, m0
	s_waitcnt lgkmcnt(0)
	s_and_b32 s0, s0, 0x3ff
	s_delay_alu instid0(SALU_CYCLE_1) | instskip(NEXT) | instid1(SALU_CYCLE_1)
	s_bitset1_b32 s0, 10
	s_mov_b32 m0, s0
	s_sendmsg sendmsg(MSG_INTERRUPT)
	s_mov_b32 m0, ttmp2
.LBB4_1610:                             ; =>This Inner Loop Header: Depth=1
	s_sethalt 5
	s_branch .LBB4_1610
.LBB4_1611:
	s_trap 2
	s_sendmsg_rtn_b32 s0, sendmsg(MSG_RTN_GET_DOORBELL)
	s_mov_b32 ttmp2, m0
	s_waitcnt lgkmcnt(0)
	s_and_b32 s0, s0, 0x3ff
	s_delay_alu instid0(SALU_CYCLE_1) | instskip(NEXT) | instid1(SALU_CYCLE_1)
	s_bitset1_b32 s0, 10
	s_mov_b32 m0, s0
	s_sendmsg sendmsg(MSG_INTERRUPT)
	s_mov_b32 m0, ttmp2
.LBB4_1612:                             ; =>This Inner Loop Header: Depth=1
	s_sethalt 5
	s_branch .LBB4_1612
.LBB4_1613:
	s_trap 2
	s_sendmsg_rtn_b32 s0, sendmsg(MSG_RTN_GET_DOORBELL)
	s_mov_b32 ttmp2, m0
	s_waitcnt lgkmcnt(0)
	s_and_b32 s0, s0, 0x3ff
	s_delay_alu instid0(SALU_CYCLE_1) | instskip(NEXT) | instid1(SALU_CYCLE_1)
	s_bitset1_b32 s0, 10
	s_mov_b32 m0, s0
	s_sendmsg sendmsg(MSG_INTERRUPT)
	s_mov_b32 m0, ttmp2
.LBB4_1614:                             ; =>This Inner Loop Header: Depth=1
	s_sethalt 5
	s_branch .LBB4_1614
.LBB4_1615:
	s_trap 2
	s_sendmsg_rtn_b32 s0, sendmsg(MSG_RTN_GET_DOORBELL)
	s_mov_b32 ttmp2, m0
	s_waitcnt lgkmcnt(0)
	s_and_b32 s0, s0, 0x3ff
	s_delay_alu instid0(SALU_CYCLE_1) | instskip(NEXT) | instid1(SALU_CYCLE_1)
	s_bitset1_b32 s0, 10
	s_mov_b32 m0, s0
	s_sendmsg sendmsg(MSG_INTERRUPT)
	s_mov_b32 m0, ttmp2
.LBB4_1616:                             ; =>This Inner Loop Header: Depth=1
	s_sethalt 5
	s_branch .LBB4_1616
.LBB4_1617:
	s_trap 2
	s_sendmsg_rtn_b32 s0, sendmsg(MSG_RTN_GET_DOORBELL)
	s_mov_b32 ttmp2, m0
	s_waitcnt lgkmcnt(0)
	s_and_b32 s0, s0, 0x3ff
	s_delay_alu instid0(SALU_CYCLE_1) | instskip(NEXT) | instid1(SALU_CYCLE_1)
	s_bitset1_b32 s0, 10
	s_mov_b32 m0, s0
	s_sendmsg sendmsg(MSG_INTERRUPT)
	s_mov_b32 m0, ttmp2
.LBB4_1618:                             ; =>This Inner Loop Header: Depth=1
	s_sethalt 5
	s_branch .LBB4_1618
.LBB4_1619:
	s_trap 2
	s_sendmsg_rtn_b32 s0, sendmsg(MSG_RTN_GET_DOORBELL)
	s_mov_b32 ttmp2, m0
	s_waitcnt lgkmcnt(0)
	s_and_b32 s0, s0, 0x3ff
	s_delay_alu instid0(SALU_CYCLE_1) | instskip(NEXT) | instid1(SALU_CYCLE_1)
	s_bitset1_b32 s0, 10
	s_mov_b32 m0, s0
	s_sendmsg sendmsg(MSG_INTERRUPT)
	s_mov_b32 m0, ttmp2
.LBB4_1620:                             ; =>This Inner Loop Header: Depth=1
	s_sethalt 5
	s_branch .LBB4_1620
.LBB4_1621:
	s_trap 2
	s_sendmsg_rtn_b32 s0, sendmsg(MSG_RTN_GET_DOORBELL)
	s_mov_b32 ttmp2, m0
	s_waitcnt lgkmcnt(0)
	s_and_b32 s0, s0, 0x3ff
	s_delay_alu instid0(SALU_CYCLE_1) | instskip(NEXT) | instid1(SALU_CYCLE_1)
	s_bitset1_b32 s0, 10
	s_mov_b32 m0, s0
	s_sendmsg sendmsg(MSG_INTERRUPT)
	s_mov_b32 m0, ttmp2
.LBB4_1622:                             ; =>This Inner Loop Header: Depth=1
	s_sethalt 5
	s_branch .LBB4_1622
.LBB4_1623:
	s_trap 2
	s_sendmsg_rtn_b32 s0, sendmsg(MSG_RTN_GET_DOORBELL)
	s_mov_b32 ttmp2, m0
	s_waitcnt lgkmcnt(0)
	s_and_b32 s0, s0, 0x3ff
	s_delay_alu instid0(SALU_CYCLE_1) | instskip(NEXT) | instid1(SALU_CYCLE_1)
	s_bitset1_b32 s0, 10
	s_mov_b32 m0, s0
	s_sendmsg sendmsg(MSG_INTERRUPT)
	s_mov_b32 m0, ttmp2
.LBB4_1624:                             ; =>This Inner Loop Header: Depth=1
	s_sethalt 5
	s_branch .LBB4_1624
.LBB4_1625:
	s_trap 2
	s_sendmsg_rtn_b32 s0, sendmsg(MSG_RTN_GET_DOORBELL)
	s_mov_b32 ttmp2, m0
	s_waitcnt lgkmcnt(0)
	s_and_b32 s0, s0, 0x3ff
	s_delay_alu instid0(SALU_CYCLE_1) | instskip(NEXT) | instid1(SALU_CYCLE_1)
	s_bitset1_b32 s0, 10
	s_mov_b32 m0, s0
	s_sendmsg sendmsg(MSG_INTERRUPT)
	s_mov_b32 m0, ttmp2
.LBB4_1626:                             ; =>This Inner Loop Header: Depth=1
	s_sethalt 5
	s_branch .LBB4_1626
.LBB4_1627:
	s_trap 2
	s_sendmsg_rtn_b32 s0, sendmsg(MSG_RTN_GET_DOORBELL)
	s_mov_b32 ttmp2, m0
	s_waitcnt lgkmcnt(0)
	s_and_b32 s0, s0, 0x3ff
	s_delay_alu instid0(SALU_CYCLE_1) | instskip(NEXT) | instid1(SALU_CYCLE_1)
	s_bitset1_b32 s0, 10
	s_mov_b32 m0, s0
	s_sendmsg sendmsg(MSG_INTERRUPT)
	s_mov_b32 m0, ttmp2
.LBB4_1628:                             ; =>This Inner Loop Header: Depth=1
	s_sethalt 5
	s_branch .LBB4_1628
.LBB4_1629:
	s_trap 2
	s_sendmsg_rtn_b32 s0, sendmsg(MSG_RTN_GET_DOORBELL)
	s_mov_b32 ttmp2, m0
	s_waitcnt lgkmcnt(0)
	s_and_b32 s0, s0, 0x3ff
	s_delay_alu instid0(SALU_CYCLE_1) | instskip(NEXT) | instid1(SALU_CYCLE_1)
	s_bitset1_b32 s0, 10
	s_mov_b32 m0, s0
	s_sendmsg sendmsg(MSG_INTERRUPT)
	s_mov_b32 m0, ttmp2
.LBB4_1630:                             ; =>This Inner Loop Header: Depth=1
	s_sethalt 5
	s_branch .LBB4_1630
.LBB4_1631:
	s_trap 2
	s_sendmsg_rtn_b32 s0, sendmsg(MSG_RTN_GET_DOORBELL)
	s_mov_b32 ttmp2, m0
	s_waitcnt lgkmcnt(0)
	s_and_b32 s0, s0, 0x3ff
	s_delay_alu instid0(SALU_CYCLE_1) | instskip(NEXT) | instid1(SALU_CYCLE_1)
	s_bitset1_b32 s0, 10
	s_mov_b32 m0, s0
	s_sendmsg sendmsg(MSG_INTERRUPT)
	s_mov_b32 m0, ttmp2
.LBB4_1632:                             ; =>This Inner Loop Header: Depth=1
	s_sethalt 5
	s_branch .LBB4_1632
.LBB4_1633:
	s_trap 2
	s_sendmsg_rtn_b32 s0, sendmsg(MSG_RTN_GET_DOORBELL)
	s_mov_b32 ttmp2, m0
	s_waitcnt lgkmcnt(0)
	s_and_b32 s0, s0, 0x3ff
	s_delay_alu instid0(SALU_CYCLE_1) | instskip(NEXT) | instid1(SALU_CYCLE_1)
	s_bitset1_b32 s0, 10
	s_mov_b32 m0, s0
	s_sendmsg sendmsg(MSG_INTERRUPT)
	s_mov_b32 m0, ttmp2
.LBB4_1634:                             ; =>This Inner Loop Header: Depth=1
	s_sethalt 5
	s_branch .LBB4_1634
.LBB4_1635:
	s_trap 2
	s_sendmsg_rtn_b32 s0, sendmsg(MSG_RTN_GET_DOORBELL)
	s_mov_b32 ttmp2, m0
	s_waitcnt lgkmcnt(0)
	s_and_b32 s0, s0, 0x3ff
	s_delay_alu instid0(SALU_CYCLE_1) | instskip(NEXT) | instid1(SALU_CYCLE_1)
	s_bitset1_b32 s0, 10
	s_mov_b32 m0, s0
	s_sendmsg sendmsg(MSG_INTERRUPT)
	s_mov_b32 m0, ttmp2
.LBB4_1636:                             ; =>This Inner Loop Header: Depth=1
	s_sethalt 5
	s_branch .LBB4_1636
.LBB4_1637:
	s_trap 2
	s_sendmsg_rtn_b32 s0, sendmsg(MSG_RTN_GET_DOORBELL)
	s_mov_b32 ttmp2, m0
	s_waitcnt lgkmcnt(0)
	s_and_b32 s0, s0, 0x3ff
	s_delay_alu instid0(SALU_CYCLE_1) | instskip(NEXT) | instid1(SALU_CYCLE_1)
	s_bitset1_b32 s0, 10
	s_mov_b32 m0, s0
	s_sendmsg sendmsg(MSG_INTERRUPT)
	s_mov_b32 m0, ttmp2
.LBB4_1638:                             ; =>This Inner Loop Header: Depth=1
	s_sethalt 5
	s_branch .LBB4_1638
.LBB4_1639:
	s_trap 2
	s_sendmsg_rtn_b32 s0, sendmsg(MSG_RTN_GET_DOORBELL)
	s_mov_b32 ttmp2, m0
	s_waitcnt lgkmcnt(0)
	s_and_b32 s0, s0, 0x3ff
	s_delay_alu instid0(SALU_CYCLE_1) | instskip(NEXT) | instid1(SALU_CYCLE_1)
	s_bitset1_b32 s0, 10
	s_mov_b32 m0, s0
	s_sendmsg sendmsg(MSG_INTERRUPT)
	s_mov_b32 m0, ttmp2
.LBB4_1640:                             ; =>This Inner Loop Header: Depth=1
	s_sethalt 5
	s_branch .LBB4_1640
.LBB4_1641:
	s_trap 2
	s_sendmsg_rtn_b32 s0, sendmsg(MSG_RTN_GET_DOORBELL)
	s_mov_b32 ttmp2, m0
	s_waitcnt lgkmcnt(0)
	s_and_b32 s0, s0, 0x3ff
	s_delay_alu instid0(SALU_CYCLE_1) | instskip(NEXT) | instid1(SALU_CYCLE_1)
	s_bitset1_b32 s0, 10
	s_mov_b32 m0, s0
	s_sendmsg sendmsg(MSG_INTERRUPT)
	s_mov_b32 m0, ttmp2
.LBB4_1642:                             ; =>This Inner Loop Header: Depth=1
	s_sethalt 5
	s_branch .LBB4_1642
.LBB4_1643:
	s_trap 2
	s_sendmsg_rtn_b32 s0, sendmsg(MSG_RTN_GET_DOORBELL)
	s_mov_b32 ttmp2, m0
	s_waitcnt lgkmcnt(0)
	s_and_b32 s0, s0, 0x3ff
	s_delay_alu instid0(SALU_CYCLE_1) | instskip(NEXT) | instid1(SALU_CYCLE_1)
	s_bitset1_b32 s0, 10
	s_mov_b32 m0, s0
	s_sendmsg sendmsg(MSG_INTERRUPT)
	s_mov_b32 m0, ttmp2
.LBB4_1644:                             ; =>This Inner Loop Header: Depth=1
	s_sethalt 5
	s_branch .LBB4_1644
.LBB4_1645:
	s_trap 2
	s_sendmsg_rtn_b32 s0, sendmsg(MSG_RTN_GET_DOORBELL)
	s_mov_b32 ttmp2, m0
	s_waitcnt lgkmcnt(0)
	s_and_b32 s0, s0, 0x3ff
	s_delay_alu instid0(SALU_CYCLE_1) | instskip(NEXT) | instid1(SALU_CYCLE_1)
	s_bitset1_b32 s0, 10
	s_mov_b32 m0, s0
	s_sendmsg sendmsg(MSG_INTERRUPT)
	s_mov_b32 m0, ttmp2
.LBB4_1646:                             ; =>This Inner Loop Header: Depth=1
	s_sethalt 5
	s_branch .LBB4_1646
.LBB4_1647:
	s_trap 2
	s_sendmsg_rtn_b32 s0, sendmsg(MSG_RTN_GET_DOORBELL)
	s_mov_b32 ttmp2, m0
	s_waitcnt lgkmcnt(0)
	s_and_b32 s0, s0, 0x3ff
	s_delay_alu instid0(SALU_CYCLE_1) | instskip(NEXT) | instid1(SALU_CYCLE_1)
	s_bitset1_b32 s0, 10
	s_mov_b32 m0, s0
	s_sendmsg sendmsg(MSG_INTERRUPT)
	s_mov_b32 m0, ttmp2
.LBB4_1648:                             ; =>This Inner Loop Header: Depth=1
	s_sethalt 5
	s_branch .LBB4_1648
.LBB4_1649:
	s_trap 2
	s_sendmsg_rtn_b32 s0, sendmsg(MSG_RTN_GET_DOORBELL)
	s_mov_b32 ttmp2, m0
	s_waitcnt lgkmcnt(0)
	s_and_b32 s0, s0, 0x3ff
	s_delay_alu instid0(SALU_CYCLE_1) | instskip(NEXT) | instid1(SALU_CYCLE_1)
	s_bitset1_b32 s0, 10
	s_mov_b32 m0, s0
	s_sendmsg sendmsg(MSG_INTERRUPT)
	s_mov_b32 m0, ttmp2
.LBB4_1650:                             ; =>This Inner Loop Header: Depth=1
	s_sethalt 5
	s_branch .LBB4_1650
.LBB4_1651:
	s_trap 2
	s_sendmsg_rtn_b32 s0, sendmsg(MSG_RTN_GET_DOORBELL)
	s_mov_b32 ttmp2, m0
	s_waitcnt lgkmcnt(0)
	s_and_b32 s0, s0, 0x3ff
	s_delay_alu instid0(SALU_CYCLE_1) | instskip(NEXT) | instid1(SALU_CYCLE_1)
	s_bitset1_b32 s0, 10
	s_mov_b32 m0, s0
	s_sendmsg sendmsg(MSG_INTERRUPT)
	s_mov_b32 m0, ttmp2
.LBB4_1652:                             ; =>This Inner Loop Header: Depth=1
	s_sethalt 5
	s_branch .LBB4_1652
.LBB4_1653:
	s_trap 2
	s_sendmsg_rtn_b32 s0, sendmsg(MSG_RTN_GET_DOORBELL)
	s_mov_b32 ttmp2, m0
	s_waitcnt lgkmcnt(0)
	s_and_b32 s0, s0, 0x3ff
	s_delay_alu instid0(SALU_CYCLE_1) | instskip(NEXT) | instid1(SALU_CYCLE_1)
	s_bitset1_b32 s0, 10
	s_mov_b32 m0, s0
	s_sendmsg sendmsg(MSG_INTERRUPT)
	s_mov_b32 m0, ttmp2
.LBB4_1654:                             ; =>This Inner Loop Header: Depth=1
	s_sethalt 5
	s_branch .LBB4_1654
.LBB4_1655:
	s_trap 2
	s_sendmsg_rtn_b32 s0, sendmsg(MSG_RTN_GET_DOORBELL)
	s_mov_b32 ttmp2, m0
	s_waitcnt lgkmcnt(0)
	s_and_b32 s0, s0, 0x3ff
	s_delay_alu instid0(SALU_CYCLE_1) | instskip(NEXT) | instid1(SALU_CYCLE_1)
	s_bitset1_b32 s0, 10
	s_mov_b32 m0, s0
	s_sendmsg sendmsg(MSG_INTERRUPT)
	s_mov_b32 m0, ttmp2
.LBB4_1656:                             ; =>This Inner Loop Header: Depth=1
	s_sethalt 5
	s_branch .LBB4_1656
.LBB4_1657:
	s_trap 2
	s_sendmsg_rtn_b32 s0, sendmsg(MSG_RTN_GET_DOORBELL)
	s_mov_b32 ttmp2, m0
	s_waitcnt lgkmcnt(0)
	s_and_b32 s0, s0, 0x3ff
	s_delay_alu instid0(SALU_CYCLE_1) | instskip(NEXT) | instid1(SALU_CYCLE_1)
	s_bitset1_b32 s0, 10
	s_mov_b32 m0, s0
	s_sendmsg sendmsg(MSG_INTERRUPT)
	s_mov_b32 m0, ttmp2
.LBB4_1658:                             ; =>This Inner Loop Header: Depth=1
	s_sethalt 5
	s_branch .LBB4_1658
.LBB4_1659:
	s_trap 2
	s_sendmsg_rtn_b32 s0, sendmsg(MSG_RTN_GET_DOORBELL)
	s_mov_b32 ttmp2, m0
	s_waitcnt lgkmcnt(0)
	s_and_b32 s0, s0, 0x3ff
	s_delay_alu instid0(SALU_CYCLE_1) | instskip(NEXT) | instid1(SALU_CYCLE_1)
	s_bitset1_b32 s0, 10
	s_mov_b32 m0, s0
	s_sendmsg sendmsg(MSG_INTERRUPT)
	s_mov_b32 m0, ttmp2
.LBB4_1660:                             ; =>This Inner Loop Header: Depth=1
	s_sethalt 5
	s_branch .LBB4_1660
.LBB4_1661:
	s_trap 2
	s_sendmsg_rtn_b32 s0, sendmsg(MSG_RTN_GET_DOORBELL)
	s_mov_b32 ttmp2, m0
	s_waitcnt lgkmcnt(0)
	s_and_b32 s0, s0, 0x3ff
	s_delay_alu instid0(SALU_CYCLE_1) | instskip(NEXT) | instid1(SALU_CYCLE_1)
	s_bitset1_b32 s0, 10
	s_mov_b32 m0, s0
	s_sendmsg sendmsg(MSG_INTERRUPT)
	s_mov_b32 m0, ttmp2
.LBB4_1662:                             ; =>This Inner Loop Header: Depth=1
	s_sethalt 5
	s_branch .LBB4_1662
.LBB4_1663:
	s_trap 2
	s_sendmsg_rtn_b32 s0, sendmsg(MSG_RTN_GET_DOORBELL)
	s_mov_b32 ttmp2, m0
	s_waitcnt lgkmcnt(0)
	s_and_b32 s0, s0, 0x3ff
	s_delay_alu instid0(SALU_CYCLE_1) | instskip(NEXT) | instid1(SALU_CYCLE_1)
	s_bitset1_b32 s0, 10
	s_mov_b32 m0, s0
	s_sendmsg sendmsg(MSG_INTERRUPT)
	s_mov_b32 m0, ttmp2
.LBB4_1664:                             ; =>This Inner Loop Header: Depth=1
	s_sethalt 5
	s_branch .LBB4_1664
.LBB4_1665:
	s_trap 2
	s_sendmsg_rtn_b32 s0, sendmsg(MSG_RTN_GET_DOORBELL)
	s_mov_b32 ttmp2, m0
	s_waitcnt lgkmcnt(0)
	s_and_b32 s0, s0, 0x3ff
	s_delay_alu instid0(SALU_CYCLE_1) | instskip(NEXT) | instid1(SALU_CYCLE_1)
	s_bitset1_b32 s0, 10
	s_mov_b32 m0, s0
	s_sendmsg sendmsg(MSG_INTERRUPT)
	s_mov_b32 m0, ttmp2
.LBB4_1666:                             ; =>This Inner Loop Header: Depth=1
	s_sethalt 5
	s_branch .LBB4_1666
.LBB4_1667:
	s_trap 2
	s_sendmsg_rtn_b32 s0, sendmsg(MSG_RTN_GET_DOORBELL)
	s_mov_b32 ttmp2, m0
	s_waitcnt lgkmcnt(0)
	s_and_b32 s0, s0, 0x3ff
	s_delay_alu instid0(SALU_CYCLE_1) | instskip(NEXT) | instid1(SALU_CYCLE_1)
	s_bitset1_b32 s0, 10
	s_mov_b32 m0, s0
	s_sendmsg sendmsg(MSG_INTERRUPT)
	s_mov_b32 m0, ttmp2
.LBB4_1668:                             ; =>This Inner Loop Header: Depth=1
	s_sethalt 5
	s_branch .LBB4_1668
.LBB4_1669:
	s_trap 2
	s_sendmsg_rtn_b32 s0, sendmsg(MSG_RTN_GET_DOORBELL)
	s_mov_b32 ttmp2, m0
	s_waitcnt lgkmcnt(0)
	s_and_b32 s0, s0, 0x3ff
	s_delay_alu instid0(SALU_CYCLE_1) | instskip(NEXT) | instid1(SALU_CYCLE_1)
	s_bitset1_b32 s0, 10
	s_mov_b32 m0, s0
	s_sendmsg sendmsg(MSG_INTERRUPT)
	s_mov_b32 m0, ttmp2
.LBB4_1670:                             ; =>This Inner Loop Header: Depth=1
	s_sethalt 5
	s_branch .LBB4_1670
.LBB4_1671:
	s_trap 2
	s_sendmsg_rtn_b32 s0, sendmsg(MSG_RTN_GET_DOORBELL)
	s_mov_b32 ttmp2, m0
	s_waitcnt lgkmcnt(0)
	s_and_b32 s0, s0, 0x3ff
	s_delay_alu instid0(SALU_CYCLE_1) | instskip(NEXT) | instid1(SALU_CYCLE_1)
	s_bitset1_b32 s0, 10
	s_mov_b32 m0, s0
	s_sendmsg sendmsg(MSG_INTERRUPT)
	s_mov_b32 m0, ttmp2
.LBB4_1672:                             ; =>This Inner Loop Header: Depth=1
	s_sethalt 5
	s_branch .LBB4_1672
.LBB4_1673:
	s_trap 2
	s_sendmsg_rtn_b32 s0, sendmsg(MSG_RTN_GET_DOORBELL)
	s_mov_b32 ttmp2, m0
	s_waitcnt lgkmcnt(0)
	s_and_b32 s0, s0, 0x3ff
	s_delay_alu instid0(SALU_CYCLE_1) | instskip(NEXT) | instid1(SALU_CYCLE_1)
	s_bitset1_b32 s0, 10
	s_mov_b32 m0, s0
	s_sendmsg sendmsg(MSG_INTERRUPT)
	s_mov_b32 m0, ttmp2
.LBB4_1674:                             ; =>This Inner Loop Header: Depth=1
	s_sethalt 5
	s_branch .LBB4_1674
.LBB4_1675:
	s_trap 2
	s_sendmsg_rtn_b32 s0, sendmsg(MSG_RTN_GET_DOORBELL)
	s_mov_b32 ttmp2, m0
	s_waitcnt lgkmcnt(0)
	s_and_b32 s0, s0, 0x3ff
	s_delay_alu instid0(SALU_CYCLE_1) | instskip(NEXT) | instid1(SALU_CYCLE_1)
	s_bitset1_b32 s0, 10
	s_mov_b32 m0, s0
	s_sendmsg sendmsg(MSG_INTERRUPT)
	s_mov_b32 m0, ttmp2
.LBB4_1676:                             ; =>This Inner Loop Header: Depth=1
	s_sethalt 5
	s_branch .LBB4_1676
.LBB4_1677:
	s_trap 2
	s_sendmsg_rtn_b32 s0, sendmsg(MSG_RTN_GET_DOORBELL)
	s_mov_b32 ttmp2, m0
	s_waitcnt lgkmcnt(0)
	s_and_b32 s0, s0, 0x3ff
	s_delay_alu instid0(SALU_CYCLE_1) | instskip(NEXT) | instid1(SALU_CYCLE_1)
	s_bitset1_b32 s0, 10
	s_mov_b32 m0, s0
	s_sendmsg sendmsg(MSG_INTERRUPT)
	s_mov_b32 m0, ttmp2
.LBB4_1678:                             ; =>This Inner Loop Header: Depth=1
	s_sethalt 5
	s_branch .LBB4_1678
.LBB4_1679:
	s_trap 2
	s_sendmsg_rtn_b32 s0, sendmsg(MSG_RTN_GET_DOORBELL)
	s_mov_b32 ttmp2, m0
	s_waitcnt lgkmcnt(0)
	s_and_b32 s0, s0, 0x3ff
	s_delay_alu instid0(SALU_CYCLE_1) | instskip(NEXT) | instid1(SALU_CYCLE_1)
	s_bitset1_b32 s0, 10
	s_mov_b32 m0, s0
	s_sendmsg sendmsg(MSG_INTERRUPT)
	s_mov_b32 m0, ttmp2
.LBB4_1680:                             ; =>This Inner Loop Header: Depth=1
	s_sethalt 5
	s_branch .LBB4_1680
.LBB4_1681:
	s_trap 2
	s_sendmsg_rtn_b32 s0, sendmsg(MSG_RTN_GET_DOORBELL)
	s_mov_b32 ttmp2, m0
	s_waitcnt lgkmcnt(0)
	s_and_b32 s0, s0, 0x3ff
	s_delay_alu instid0(SALU_CYCLE_1) | instskip(NEXT) | instid1(SALU_CYCLE_1)
	s_bitset1_b32 s0, 10
	s_mov_b32 m0, s0
	s_sendmsg sendmsg(MSG_INTERRUPT)
	s_mov_b32 m0, ttmp2
.LBB4_1682:                             ; =>This Inner Loop Header: Depth=1
	s_sethalt 5
	s_branch .LBB4_1682
.LBB4_1683:
	s_trap 2
	s_sendmsg_rtn_b32 s0, sendmsg(MSG_RTN_GET_DOORBELL)
	s_mov_b32 ttmp2, m0
	s_waitcnt lgkmcnt(0)
	s_and_b32 s0, s0, 0x3ff
	s_delay_alu instid0(SALU_CYCLE_1) | instskip(NEXT) | instid1(SALU_CYCLE_1)
	s_bitset1_b32 s0, 10
	s_mov_b32 m0, s0
	s_sendmsg sendmsg(MSG_INTERRUPT)
	s_mov_b32 m0, ttmp2
.LBB4_1684:                             ; =>This Inner Loop Header: Depth=1
	s_sethalt 5
	s_branch .LBB4_1684
.LBB4_1685:
	s_trap 2
	s_sendmsg_rtn_b32 s0, sendmsg(MSG_RTN_GET_DOORBELL)
	s_mov_b32 ttmp2, m0
	s_waitcnt lgkmcnt(0)
	s_and_b32 s0, s0, 0x3ff
	s_delay_alu instid0(SALU_CYCLE_1) | instskip(NEXT) | instid1(SALU_CYCLE_1)
	s_bitset1_b32 s0, 10
	s_mov_b32 m0, s0
	s_sendmsg sendmsg(MSG_INTERRUPT)
	s_mov_b32 m0, ttmp2
.LBB4_1686:                             ; =>This Inner Loop Header: Depth=1
	s_sethalt 5
	s_branch .LBB4_1686
.LBB4_1687:
	s_trap 2
	s_sendmsg_rtn_b32 s0, sendmsg(MSG_RTN_GET_DOORBELL)
	s_mov_b32 ttmp2, m0
	s_waitcnt lgkmcnt(0)
	s_and_b32 s0, s0, 0x3ff
	s_delay_alu instid0(SALU_CYCLE_1) | instskip(NEXT) | instid1(SALU_CYCLE_1)
	s_bitset1_b32 s0, 10
	s_mov_b32 m0, s0
	s_sendmsg sendmsg(MSG_INTERRUPT)
	s_mov_b32 m0, ttmp2
.LBB4_1688:                             ; =>This Inner Loop Header: Depth=1
	s_sethalt 5
	s_branch .LBB4_1688
.LBB4_1689:
	s_trap 2
	s_sendmsg_rtn_b32 s0, sendmsg(MSG_RTN_GET_DOORBELL)
	s_mov_b32 ttmp2, m0
	s_waitcnt lgkmcnt(0)
	s_and_b32 s0, s0, 0x3ff
	s_delay_alu instid0(SALU_CYCLE_1) | instskip(NEXT) | instid1(SALU_CYCLE_1)
	s_bitset1_b32 s0, 10
	s_mov_b32 m0, s0
	s_sendmsg sendmsg(MSG_INTERRUPT)
	s_mov_b32 m0, ttmp2
.LBB4_1690:                             ; =>This Inner Loop Header: Depth=1
	s_sethalt 5
	s_branch .LBB4_1690
.LBB4_1691:
	s_or_b32 exec_lo, exec_lo, s4
	s_and_saveexec_b32 s4, s5
	s_delay_alu instid0(SALU_CYCLE_1)
	s_xor_b32 s4, exec_lo, s4
	s_cbranch_execz .LBB4_1693
; %bb.1692:
	v_mov_b32_e32 v0, 1
	ds_store_b32 v0, v0
	s_cbranch_execnz .LBB4_1785
.LBB4_1693:
	s_or_b32 exec_lo, exec_lo, s3
	;;#ASMSTART
	s_wakeup
	;;#ASMEND
.LBB4_1694:
	s_or_b32 exec_lo, exec_lo, s2
.LBB4_1695:
	s_and_not1_saveexec_b32 s1, s1
	s_cbranch_execz .LBB4_1697
; %bb.1696:
	s_waitcnt lgkmcnt(0)
	s_waitcnt_vscnt null, 0x0
	buffer_gl1_inv
	buffer_gl0_inv
	s_barrier
.LBB4_1697:
	s_or_b32 exec_lo, exec_lo, s0
.LBB4_1698:
	s_and_not1_saveexec_b32 s21, s24
	s_cbranch_execz .LBB4_1700
; %bb.1699:
	s_getpc_b64 s[0:1]
	s_add_u32 s0, s0, __PRETTY_FUNCTION__._ZN10PrimitivesIm14FuncSumPostDivImE12FanSymmetricILi1EELi0E11ProtoSimpleILi2ELi2ELi0ELi2ELi0ELi0EELi0ELb0ELi0ELi0ELi0EEC2EiiPKiS8_PKvPvmhhhP15ncclDevWorkCollP14ncclDevWorkP2pii@rel32@lo+4
	s_addc_u32 s1, s1, __PRETTY_FUNCTION__._ZN10PrimitivesIm14FuncSumPostDivImE12FanSymmetricILi1EELi0E11ProtoSimpleILi2ELi2ELi0ELi2ELi0ELi0EELi0ELb0ELi0ELi0ELi0EEC2EiiPKiS8_PKvPvmhhhP15ncclDevWorkCollP14ncclDevWorkP2pii@rel32@hi+12
	s_delay_alu instid0(SALU_CYCLE_1) | instskip(SKIP_3) | instid1(SALU_CYCLE_1)
	v_dual_mov_b32 v0, s0 :: v_dual_mov_b32 v1, s1
	s_getpc_b64 s[2:3]
	s_add_u32 s2, s2, __assert_fail@rel32@lo+4
	s_addc_u32 s3, s3, __assert_fail@rel32@hi+12
	s_swappc_b64 s[30:31], s[2:3]
	; divergent unreachable
.LBB4_1700:
	s_or_b32 exec_lo, exec_lo, s21
	scratch_load_b32 v40, off, s33          ; 4-byte Folded Reload
	v_readlane_b32 s30, v41, 12
	v_readlane_b32 s31, v41, 13
	;; [unrolled: 1-line block ×15, first 2 shown]
	s_or_saveexec_b32 s1, -1
	s_clause 0x1
	scratch_load_b32 v41, off, s33 offset:4
	scratch_load_b32 v42, off, s33 offset:8
	s_mov_b32 exec_lo, s1
	s_add_i32 s32, s32, -16
	s_mov_b32 s33, s0
	s_waitcnt vmcnt(0) lgkmcnt(0)
	s_setpc_b64 s[30:31]
.LBB4_1701:
	s_trap 2
	s_sendmsg_rtn_b32 s0, sendmsg(MSG_RTN_GET_DOORBELL)
	s_mov_b32 ttmp2, m0
	s_waitcnt lgkmcnt(0)
	s_and_b32 s0, s0, 0x3ff
	s_delay_alu instid0(SALU_CYCLE_1) | instskip(NEXT) | instid1(SALU_CYCLE_1)
	s_bitset1_b32 s0, 10
	s_mov_b32 m0, s0
	s_sendmsg sendmsg(MSG_INTERRUPT)
	s_mov_b32 m0, ttmp2
.LBB4_1702:                             ; =>This Inner Loop Header: Depth=1
	s_sethalt 5
	s_branch .LBB4_1702
.LBB4_1703:
	s_trap 2
	s_sendmsg_rtn_b32 s0, sendmsg(MSG_RTN_GET_DOORBELL)
	s_mov_b32 ttmp2, m0
	s_waitcnt lgkmcnt(0)
	s_and_b32 s0, s0, 0x3ff
	s_delay_alu instid0(SALU_CYCLE_1) | instskip(NEXT) | instid1(SALU_CYCLE_1)
	s_bitset1_b32 s0, 10
	s_mov_b32 m0, s0
	s_sendmsg sendmsg(MSG_INTERRUPT)
	s_mov_b32 m0, ttmp2
.LBB4_1704:                             ; =>This Inner Loop Header: Depth=1
	s_sethalt 5
	s_branch .LBB4_1704
.LBB4_1705:
	s_trap 2
	s_sendmsg_rtn_b32 s0, sendmsg(MSG_RTN_GET_DOORBELL)
	s_mov_b32 ttmp2, m0
	s_waitcnt lgkmcnt(0)
	s_and_b32 s0, s0, 0x3ff
	s_delay_alu instid0(SALU_CYCLE_1) | instskip(NEXT) | instid1(SALU_CYCLE_1)
	s_bitset1_b32 s0, 10
	s_mov_b32 m0, s0
	s_sendmsg sendmsg(MSG_INTERRUPT)
	s_mov_b32 m0, ttmp2
.LBB4_1706:                             ; =>This Inner Loop Header: Depth=1
	s_sethalt 5
	s_branch .LBB4_1706
.LBB4_1707:
	s_trap 2
	s_sendmsg_rtn_b32 s0, sendmsg(MSG_RTN_GET_DOORBELL)
	s_mov_b32 ttmp2, m0
	s_waitcnt lgkmcnt(0)
	s_and_b32 s0, s0, 0x3ff
	s_delay_alu instid0(SALU_CYCLE_1) | instskip(NEXT) | instid1(SALU_CYCLE_1)
	s_bitset1_b32 s0, 10
	s_mov_b32 m0, s0
	s_sendmsg sendmsg(MSG_INTERRUPT)
	s_mov_b32 m0, ttmp2
.LBB4_1708:                             ; =>This Inner Loop Header: Depth=1
	s_sethalt 5
	s_branch .LBB4_1708
.LBB4_1709:
	s_trap 2
	s_sendmsg_rtn_b32 s0, sendmsg(MSG_RTN_GET_DOORBELL)
	s_mov_b32 ttmp2, m0
	s_waitcnt lgkmcnt(0)
	s_and_b32 s0, s0, 0x3ff
	s_delay_alu instid0(SALU_CYCLE_1) | instskip(NEXT) | instid1(SALU_CYCLE_1)
	s_bitset1_b32 s0, 10
	s_mov_b32 m0, s0
	s_sendmsg sendmsg(MSG_INTERRUPT)
	s_mov_b32 m0, ttmp2
.LBB4_1710:                             ; =>This Inner Loop Header: Depth=1
	s_sethalt 5
	s_branch .LBB4_1710
.LBB4_1711:
	s_trap 2
	s_sendmsg_rtn_b32 s0, sendmsg(MSG_RTN_GET_DOORBELL)
	s_mov_b32 ttmp2, m0
	s_waitcnt lgkmcnt(0)
	s_and_b32 s0, s0, 0x3ff
	s_delay_alu instid0(SALU_CYCLE_1) | instskip(NEXT) | instid1(SALU_CYCLE_1)
	s_bitset1_b32 s0, 10
	s_mov_b32 m0, s0
	s_sendmsg sendmsg(MSG_INTERRUPT)
	s_mov_b32 m0, ttmp2
.LBB4_1712:                             ; =>This Inner Loop Header: Depth=1
	s_sethalt 5
	s_branch .LBB4_1712
.LBB4_1713:
	s_trap 2
	s_sendmsg_rtn_b32 s0, sendmsg(MSG_RTN_GET_DOORBELL)
	s_mov_b32 ttmp2, m0
	s_waitcnt lgkmcnt(0)
	s_and_b32 s0, s0, 0x3ff
	s_delay_alu instid0(SALU_CYCLE_1) | instskip(NEXT) | instid1(SALU_CYCLE_1)
	s_bitset1_b32 s0, 10
	s_mov_b32 m0, s0
	s_sendmsg sendmsg(MSG_INTERRUPT)
	s_mov_b32 m0, ttmp2
.LBB4_1714:                             ; =>This Inner Loop Header: Depth=1
	s_sethalt 5
	s_branch .LBB4_1714
.LBB4_1715:
	s_trap 2
	s_sendmsg_rtn_b32 s0, sendmsg(MSG_RTN_GET_DOORBELL)
	s_mov_b32 ttmp2, m0
	s_waitcnt lgkmcnt(0)
	s_and_b32 s0, s0, 0x3ff
	s_delay_alu instid0(SALU_CYCLE_1) | instskip(NEXT) | instid1(SALU_CYCLE_1)
	s_bitset1_b32 s0, 10
	s_mov_b32 m0, s0
	s_sendmsg sendmsg(MSG_INTERRUPT)
	s_mov_b32 m0, ttmp2
.LBB4_1716:                             ; =>This Inner Loop Header: Depth=1
	s_sethalt 5
	s_branch .LBB4_1716
.LBB4_1717:
	s_trap 2
	s_sendmsg_rtn_b32 s0, sendmsg(MSG_RTN_GET_DOORBELL)
	s_mov_b32 ttmp2, m0
	s_waitcnt lgkmcnt(0)
	s_and_b32 s0, s0, 0x3ff
	s_delay_alu instid0(SALU_CYCLE_1) | instskip(NEXT) | instid1(SALU_CYCLE_1)
	s_bitset1_b32 s0, 10
	s_mov_b32 m0, s0
	s_sendmsg sendmsg(MSG_INTERRUPT)
	s_mov_b32 m0, ttmp2
.LBB4_1718:                             ; =>This Inner Loop Header: Depth=1
	s_sethalt 5
	s_branch .LBB4_1718
.LBB4_1719:
	s_trap 2
	s_sendmsg_rtn_b32 s0, sendmsg(MSG_RTN_GET_DOORBELL)
	s_mov_b32 ttmp2, m0
	s_waitcnt lgkmcnt(0)
	s_and_b32 s0, s0, 0x3ff
	s_delay_alu instid0(SALU_CYCLE_1) | instskip(NEXT) | instid1(SALU_CYCLE_1)
	s_bitset1_b32 s0, 10
	s_mov_b32 m0, s0
	s_sendmsg sendmsg(MSG_INTERRUPT)
	s_mov_b32 m0, ttmp2
.LBB4_1720:                             ; =>This Inner Loop Header: Depth=1
	s_sethalt 5
	s_branch .LBB4_1720
.LBB4_1721:
	s_trap 2
	s_sendmsg_rtn_b32 s0, sendmsg(MSG_RTN_GET_DOORBELL)
	s_mov_b32 ttmp2, m0
	s_waitcnt lgkmcnt(0)
	s_and_b32 s0, s0, 0x3ff
	s_delay_alu instid0(SALU_CYCLE_1) | instskip(NEXT) | instid1(SALU_CYCLE_1)
	s_bitset1_b32 s0, 10
	s_mov_b32 m0, s0
	s_sendmsg sendmsg(MSG_INTERRUPT)
	s_mov_b32 m0, ttmp2
.LBB4_1722:                             ; =>This Inner Loop Header: Depth=1
	s_sethalt 5
	s_branch .LBB4_1722
.LBB4_1723:
	s_trap 2
	s_sendmsg_rtn_b32 s0, sendmsg(MSG_RTN_GET_DOORBELL)
	s_mov_b32 ttmp2, m0
	s_waitcnt lgkmcnt(0)
	s_and_b32 s0, s0, 0x3ff
	s_delay_alu instid0(SALU_CYCLE_1) | instskip(NEXT) | instid1(SALU_CYCLE_1)
	s_bitset1_b32 s0, 10
	s_mov_b32 m0, s0
	s_sendmsg sendmsg(MSG_INTERRUPT)
	s_mov_b32 m0, ttmp2
.LBB4_1724:                             ; =>This Inner Loop Header: Depth=1
	s_sethalt 5
	s_branch .LBB4_1724
.LBB4_1725:
	s_trap 2
	s_sendmsg_rtn_b32 s0, sendmsg(MSG_RTN_GET_DOORBELL)
	s_mov_b32 ttmp2, m0
	s_waitcnt lgkmcnt(0)
	s_and_b32 s0, s0, 0x3ff
	s_delay_alu instid0(SALU_CYCLE_1) | instskip(NEXT) | instid1(SALU_CYCLE_1)
	s_bitset1_b32 s0, 10
	s_mov_b32 m0, s0
	s_sendmsg sendmsg(MSG_INTERRUPT)
	s_mov_b32 m0, ttmp2
.LBB4_1726:                             ; =>This Inner Loop Header: Depth=1
	s_sethalt 5
	s_branch .LBB4_1726
.LBB4_1727:
	s_trap 2
	s_sendmsg_rtn_b32 s0, sendmsg(MSG_RTN_GET_DOORBELL)
	s_mov_b32 ttmp2, m0
	s_waitcnt lgkmcnt(0)
	s_and_b32 s0, s0, 0x3ff
	s_delay_alu instid0(SALU_CYCLE_1) | instskip(NEXT) | instid1(SALU_CYCLE_1)
	s_bitset1_b32 s0, 10
	s_mov_b32 m0, s0
	s_sendmsg sendmsg(MSG_INTERRUPT)
	s_mov_b32 m0, ttmp2
.LBB4_1728:                             ; =>This Inner Loop Header: Depth=1
	s_sethalt 5
	s_branch .LBB4_1728
.LBB4_1729:
	s_trap 2
	s_sendmsg_rtn_b32 s0, sendmsg(MSG_RTN_GET_DOORBELL)
	s_mov_b32 ttmp2, m0
	s_waitcnt lgkmcnt(0)
	s_and_b32 s0, s0, 0x3ff
	s_delay_alu instid0(SALU_CYCLE_1) | instskip(NEXT) | instid1(SALU_CYCLE_1)
	s_bitset1_b32 s0, 10
	s_mov_b32 m0, s0
	s_sendmsg sendmsg(MSG_INTERRUPT)
	s_mov_b32 m0, ttmp2
.LBB4_1730:                             ; =>This Inner Loop Header: Depth=1
	s_sethalt 5
	s_branch .LBB4_1730
.LBB4_1731:
	s_trap 2
	s_sendmsg_rtn_b32 s0, sendmsg(MSG_RTN_GET_DOORBELL)
	s_mov_b32 ttmp2, m0
	s_waitcnt lgkmcnt(0)
	s_and_b32 s0, s0, 0x3ff
	s_delay_alu instid0(SALU_CYCLE_1) | instskip(NEXT) | instid1(SALU_CYCLE_1)
	s_bitset1_b32 s0, 10
	s_mov_b32 m0, s0
	s_sendmsg sendmsg(MSG_INTERRUPT)
	s_mov_b32 m0, ttmp2
.LBB4_1732:                             ; =>This Inner Loop Header: Depth=1
	s_sethalt 5
	s_branch .LBB4_1732
.LBB4_1733:
	s_trap 2
	s_sendmsg_rtn_b32 s0, sendmsg(MSG_RTN_GET_DOORBELL)
	s_mov_b32 ttmp2, m0
	s_waitcnt lgkmcnt(0)
	s_and_b32 s0, s0, 0x3ff
	s_delay_alu instid0(SALU_CYCLE_1) | instskip(NEXT) | instid1(SALU_CYCLE_1)
	s_bitset1_b32 s0, 10
	s_mov_b32 m0, s0
	s_sendmsg sendmsg(MSG_INTERRUPT)
	s_mov_b32 m0, ttmp2
.LBB4_1734:                             ; =>This Inner Loop Header: Depth=1
	s_sethalt 5
	s_branch .LBB4_1734
.LBB4_1735:
	s_trap 2
	s_sendmsg_rtn_b32 s0, sendmsg(MSG_RTN_GET_DOORBELL)
	s_mov_b32 ttmp2, m0
	s_waitcnt lgkmcnt(0)
	s_and_b32 s0, s0, 0x3ff
	s_delay_alu instid0(SALU_CYCLE_1) | instskip(NEXT) | instid1(SALU_CYCLE_1)
	s_bitset1_b32 s0, 10
	s_mov_b32 m0, s0
	s_sendmsg sendmsg(MSG_INTERRUPT)
	s_mov_b32 m0, ttmp2
.LBB4_1736:                             ; =>This Inner Loop Header: Depth=1
	s_sethalt 5
	s_branch .LBB4_1736
.LBB4_1737:
	s_trap 2
	s_sendmsg_rtn_b32 s0, sendmsg(MSG_RTN_GET_DOORBELL)
	s_mov_b32 ttmp2, m0
	s_waitcnt lgkmcnt(0)
	s_and_b32 s0, s0, 0x3ff
	s_delay_alu instid0(SALU_CYCLE_1) | instskip(NEXT) | instid1(SALU_CYCLE_1)
	s_bitset1_b32 s0, 10
	s_mov_b32 m0, s0
	s_sendmsg sendmsg(MSG_INTERRUPT)
	s_mov_b32 m0, ttmp2
.LBB4_1738:                             ; =>This Inner Loop Header: Depth=1
	s_sethalt 5
	s_branch .LBB4_1738
.LBB4_1739:
	s_trap 2
	s_sendmsg_rtn_b32 s0, sendmsg(MSG_RTN_GET_DOORBELL)
	s_mov_b32 ttmp2, m0
	s_waitcnt lgkmcnt(0)
	s_and_b32 s0, s0, 0x3ff
	s_delay_alu instid0(SALU_CYCLE_1) | instskip(NEXT) | instid1(SALU_CYCLE_1)
	s_bitset1_b32 s0, 10
	s_mov_b32 m0, s0
	s_sendmsg sendmsg(MSG_INTERRUPT)
	s_mov_b32 m0, ttmp2
.LBB4_1740:                             ; =>This Inner Loop Header: Depth=1
	s_sethalt 5
	s_branch .LBB4_1740
.LBB4_1741:
	s_trap 2
	s_sendmsg_rtn_b32 s0, sendmsg(MSG_RTN_GET_DOORBELL)
	s_mov_b32 ttmp2, m0
	s_waitcnt lgkmcnt(0)
	s_and_b32 s0, s0, 0x3ff
	s_delay_alu instid0(SALU_CYCLE_1) | instskip(NEXT) | instid1(SALU_CYCLE_1)
	s_bitset1_b32 s0, 10
	s_mov_b32 m0, s0
	s_sendmsg sendmsg(MSG_INTERRUPT)
	s_mov_b32 m0, ttmp2
.LBB4_1742:                             ; =>This Inner Loop Header: Depth=1
	s_sethalt 5
	s_branch .LBB4_1742
.LBB4_1743:
	s_trap 2
	s_sendmsg_rtn_b32 s0, sendmsg(MSG_RTN_GET_DOORBELL)
	s_mov_b32 ttmp2, m0
	s_waitcnt lgkmcnt(0)
	s_and_b32 s0, s0, 0x3ff
	s_delay_alu instid0(SALU_CYCLE_1) | instskip(NEXT) | instid1(SALU_CYCLE_1)
	s_bitset1_b32 s0, 10
	s_mov_b32 m0, s0
	s_sendmsg sendmsg(MSG_INTERRUPT)
	s_mov_b32 m0, ttmp2
.LBB4_1744:                             ; =>This Inner Loop Header: Depth=1
	s_sethalt 5
	s_branch .LBB4_1744
.LBB4_1745:
	s_trap 2
	s_sendmsg_rtn_b32 s0, sendmsg(MSG_RTN_GET_DOORBELL)
	s_mov_b32 ttmp2, m0
	s_waitcnt lgkmcnt(0)
	s_and_b32 s0, s0, 0x3ff
	s_delay_alu instid0(SALU_CYCLE_1) | instskip(NEXT) | instid1(SALU_CYCLE_1)
	s_bitset1_b32 s0, 10
	s_mov_b32 m0, s0
	s_sendmsg sendmsg(MSG_INTERRUPT)
	s_mov_b32 m0, ttmp2
.LBB4_1746:                             ; =>This Inner Loop Header: Depth=1
	s_sethalt 5
	s_branch .LBB4_1746
.LBB4_1747:
	s_trap 2
	s_sendmsg_rtn_b32 s0, sendmsg(MSG_RTN_GET_DOORBELL)
	s_mov_b32 ttmp2, m0
	s_waitcnt lgkmcnt(0)
	s_and_b32 s0, s0, 0x3ff
	s_delay_alu instid0(SALU_CYCLE_1) | instskip(NEXT) | instid1(SALU_CYCLE_1)
	s_bitset1_b32 s0, 10
	s_mov_b32 m0, s0
	s_sendmsg sendmsg(MSG_INTERRUPT)
	s_mov_b32 m0, ttmp2
.LBB4_1748:                             ; =>This Inner Loop Header: Depth=1
	s_sethalt 5
	s_branch .LBB4_1748
.LBB4_1749:
	s_trap 2
	s_sendmsg_rtn_b32 s0, sendmsg(MSG_RTN_GET_DOORBELL)
	s_mov_b32 ttmp2, m0
	s_waitcnt lgkmcnt(0)
	s_and_b32 s0, s0, 0x3ff
	s_delay_alu instid0(SALU_CYCLE_1) | instskip(NEXT) | instid1(SALU_CYCLE_1)
	s_bitset1_b32 s0, 10
	s_mov_b32 m0, s0
	s_sendmsg sendmsg(MSG_INTERRUPT)
	s_mov_b32 m0, ttmp2
.LBB4_1750:                             ; =>This Inner Loop Header: Depth=1
	s_sethalt 5
	s_branch .LBB4_1750
.LBB4_1751:
	s_trap 2
	s_sendmsg_rtn_b32 s0, sendmsg(MSG_RTN_GET_DOORBELL)
	s_mov_b32 ttmp2, m0
	s_waitcnt lgkmcnt(0)
	s_and_b32 s0, s0, 0x3ff
	s_delay_alu instid0(SALU_CYCLE_1) | instskip(NEXT) | instid1(SALU_CYCLE_1)
	s_bitset1_b32 s0, 10
	s_mov_b32 m0, s0
	s_sendmsg sendmsg(MSG_INTERRUPT)
	s_mov_b32 m0, ttmp2
.LBB4_1752:                             ; =>This Inner Loop Header: Depth=1
	s_sethalt 5
	s_branch .LBB4_1752
.LBB4_1753:
	s_trap 2
	s_sendmsg_rtn_b32 s0, sendmsg(MSG_RTN_GET_DOORBELL)
	s_mov_b32 ttmp2, m0
	s_waitcnt lgkmcnt(0)
	s_and_b32 s0, s0, 0x3ff
	s_delay_alu instid0(SALU_CYCLE_1) | instskip(NEXT) | instid1(SALU_CYCLE_1)
	s_bitset1_b32 s0, 10
	s_mov_b32 m0, s0
	s_sendmsg sendmsg(MSG_INTERRUPT)
	s_mov_b32 m0, ttmp2
.LBB4_1754:                             ; =>This Inner Loop Header: Depth=1
	s_sethalt 5
	s_branch .LBB4_1754
.LBB4_1755:
	s_trap 2
	s_sendmsg_rtn_b32 s0, sendmsg(MSG_RTN_GET_DOORBELL)
	s_mov_b32 ttmp2, m0
	s_waitcnt lgkmcnt(0)
	s_and_b32 s0, s0, 0x3ff
	s_delay_alu instid0(SALU_CYCLE_1) | instskip(NEXT) | instid1(SALU_CYCLE_1)
	s_bitset1_b32 s0, 10
	s_mov_b32 m0, s0
	s_sendmsg sendmsg(MSG_INTERRUPT)
	s_mov_b32 m0, ttmp2
.LBB4_1756:                             ; =>This Inner Loop Header: Depth=1
	s_sethalt 5
	s_branch .LBB4_1756
.LBB4_1757:
	s_trap 2
	s_sendmsg_rtn_b32 s0, sendmsg(MSG_RTN_GET_DOORBELL)
	s_mov_b32 ttmp2, m0
	s_waitcnt lgkmcnt(0)
	s_and_b32 s0, s0, 0x3ff
	s_delay_alu instid0(SALU_CYCLE_1) | instskip(NEXT) | instid1(SALU_CYCLE_1)
	s_bitset1_b32 s0, 10
	s_mov_b32 m0, s0
	s_sendmsg sendmsg(MSG_INTERRUPT)
	s_mov_b32 m0, ttmp2
.LBB4_1758:                             ; =>This Inner Loop Header: Depth=1
	s_sethalt 5
	s_branch .LBB4_1758
.LBB4_1759:
	s_trap 2
	s_sendmsg_rtn_b32 s0, sendmsg(MSG_RTN_GET_DOORBELL)
	s_mov_b32 ttmp2, m0
	s_waitcnt lgkmcnt(0)
	s_and_b32 s0, s0, 0x3ff
	s_delay_alu instid0(SALU_CYCLE_1) | instskip(NEXT) | instid1(SALU_CYCLE_1)
	s_bitset1_b32 s0, 10
	s_mov_b32 m0, s0
	s_sendmsg sendmsg(MSG_INTERRUPT)
	s_mov_b32 m0, ttmp2
.LBB4_1760:                             ; =>This Inner Loop Header: Depth=1
	s_sethalt 5
	s_branch .LBB4_1760
.LBB4_1761:
	s_trap 2
	s_sendmsg_rtn_b32 s0, sendmsg(MSG_RTN_GET_DOORBELL)
	s_mov_b32 ttmp2, m0
	s_waitcnt lgkmcnt(0)
	s_and_b32 s0, s0, 0x3ff
	s_delay_alu instid0(SALU_CYCLE_1) | instskip(NEXT) | instid1(SALU_CYCLE_1)
	s_bitset1_b32 s0, 10
	s_mov_b32 m0, s0
	s_sendmsg sendmsg(MSG_INTERRUPT)
	s_mov_b32 m0, ttmp2
.LBB4_1762:                             ; =>This Inner Loop Header: Depth=1
	s_sethalt 5
	s_branch .LBB4_1762
.LBB4_1763:
	s_trap 2
	s_sendmsg_rtn_b32 s0, sendmsg(MSG_RTN_GET_DOORBELL)
	s_mov_b32 ttmp2, m0
	s_waitcnt lgkmcnt(0)
	s_and_b32 s0, s0, 0x3ff
	s_delay_alu instid0(SALU_CYCLE_1) | instskip(NEXT) | instid1(SALU_CYCLE_1)
	s_bitset1_b32 s0, 10
	s_mov_b32 m0, s0
	s_sendmsg sendmsg(MSG_INTERRUPT)
	s_mov_b32 m0, ttmp2
.LBB4_1764:                             ; =>This Inner Loop Header: Depth=1
	s_sethalt 5
	s_branch .LBB4_1764
.LBB4_1765:
	s_trap 2
	s_sendmsg_rtn_b32 s0, sendmsg(MSG_RTN_GET_DOORBELL)
	s_mov_b32 ttmp2, m0
	s_waitcnt lgkmcnt(0)
	s_and_b32 s0, s0, 0x3ff
	s_delay_alu instid0(SALU_CYCLE_1) | instskip(NEXT) | instid1(SALU_CYCLE_1)
	s_bitset1_b32 s0, 10
	s_mov_b32 m0, s0
	s_sendmsg sendmsg(MSG_INTERRUPT)
	s_mov_b32 m0, ttmp2
.LBB4_1766:                             ; =>This Inner Loop Header: Depth=1
	s_sethalt 5
	s_branch .LBB4_1766
.LBB4_1767:
	s_trap 2
	s_sendmsg_rtn_b32 s0, sendmsg(MSG_RTN_GET_DOORBELL)
	s_mov_b32 ttmp2, m0
	s_waitcnt lgkmcnt(0)
	s_and_b32 s0, s0, 0x3ff
	s_delay_alu instid0(SALU_CYCLE_1) | instskip(NEXT) | instid1(SALU_CYCLE_1)
	s_bitset1_b32 s0, 10
	s_mov_b32 m0, s0
	s_sendmsg sendmsg(MSG_INTERRUPT)
	s_mov_b32 m0, ttmp2
.LBB4_1768:                             ; =>This Inner Loop Header: Depth=1
	s_sethalt 5
	s_branch .LBB4_1768
.LBB4_1769:
	s_trap 2
	s_sendmsg_rtn_b32 s0, sendmsg(MSG_RTN_GET_DOORBELL)
	s_mov_b32 ttmp2, m0
	s_waitcnt lgkmcnt(0)
	s_and_b32 s0, s0, 0x3ff
	s_delay_alu instid0(SALU_CYCLE_1) | instskip(NEXT) | instid1(SALU_CYCLE_1)
	s_bitset1_b32 s0, 10
	s_mov_b32 m0, s0
	s_sendmsg sendmsg(MSG_INTERRUPT)
	s_mov_b32 m0, ttmp2
.LBB4_1770:                             ; =>This Inner Loop Header: Depth=1
	s_sethalt 5
	s_branch .LBB4_1770
.LBB4_1771:
	s_trap 2
	s_sendmsg_rtn_b32 s0, sendmsg(MSG_RTN_GET_DOORBELL)
	s_mov_b32 ttmp2, m0
	s_waitcnt lgkmcnt(0)
	s_and_b32 s0, s0, 0x3ff
	s_delay_alu instid0(SALU_CYCLE_1) | instskip(NEXT) | instid1(SALU_CYCLE_1)
	s_bitset1_b32 s0, 10
	s_mov_b32 m0, s0
	s_sendmsg sendmsg(MSG_INTERRUPT)
	s_mov_b32 m0, ttmp2
.LBB4_1772:                             ; =>This Inner Loop Header: Depth=1
	s_sethalt 5
	s_branch .LBB4_1772
.LBB4_1773:
	s_trap 2
	s_sendmsg_rtn_b32 s0, sendmsg(MSG_RTN_GET_DOORBELL)
	s_mov_b32 ttmp2, m0
	s_waitcnt lgkmcnt(0)
	s_and_b32 s0, s0, 0x3ff
	s_delay_alu instid0(SALU_CYCLE_1) | instskip(NEXT) | instid1(SALU_CYCLE_1)
	s_bitset1_b32 s0, 10
	s_mov_b32 m0, s0
	s_sendmsg sendmsg(MSG_INTERRUPT)
	s_mov_b32 m0, ttmp2
.LBB4_1774:                             ; =>This Inner Loop Header: Depth=1
	s_sethalt 5
	s_branch .LBB4_1774
.LBB4_1775:
	s_trap 2
	s_sendmsg_rtn_b32 s0, sendmsg(MSG_RTN_GET_DOORBELL)
	s_mov_b32 ttmp2, m0
	s_waitcnt lgkmcnt(0)
	s_and_b32 s0, s0, 0x3ff
	s_delay_alu instid0(SALU_CYCLE_1) | instskip(NEXT) | instid1(SALU_CYCLE_1)
	s_bitset1_b32 s0, 10
	s_mov_b32 m0, s0
	s_sendmsg sendmsg(MSG_INTERRUPT)
	s_mov_b32 m0, ttmp2
.LBB4_1776:                             ; =>This Inner Loop Header: Depth=1
	s_sethalt 5
	s_branch .LBB4_1776
.LBB4_1777:
	s_trap 2
	s_sendmsg_rtn_b32 s0, sendmsg(MSG_RTN_GET_DOORBELL)
	s_mov_b32 ttmp2, m0
	s_waitcnt lgkmcnt(0)
	s_and_b32 s0, s0, 0x3ff
	s_delay_alu instid0(SALU_CYCLE_1) | instskip(NEXT) | instid1(SALU_CYCLE_1)
	s_bitset1_b32 s0, 10
	s_mov_b32 m0, s0
	s_sendmsg sendmsg(MSG_INTERRUPT)
	s_mov_b32 m0, ttmp2
.LBB4_1778:                             ; =>This Inner Loop Header: Depth=1
	s_sethalt 5
	s_branch .LBB4_1778
.LBB4_1779:
	s_trap 2
	s_sendmsg_rtn_b32 s0, sendmsg(MSG_RTN_GET_DOORBELL)
	s_mov_b32 ttmp2, m0
	s_waitcnt lgkmcnt(0)
	s_and_b32 s0, s0, 0x3ff
	s_delay_alu instid0(SALU_CYCLE_1) | instskip(NEXT) | instid1(SALU_CYCLE_1)
	s_bitset1_b32 s0, 10
	s_mov_b32 m0, s0
	s_sendmsg sendmsg(MSG_INTERRUPT)
	s_mov_b32 m0, ttmp2
.LBB4_1780:                             ; =>This Inner Loop Header: Depth=1
	s_sethalt 5
	s_branch .LBB4_1780
.LBB4_1781:
	s_trap 2
	s_sendmsg_rtn_b32 s0, sendmsg(MSG_RTN_GET_DOORBELL)
	s_mov_b32 ttmp2, m0
	s_waitcnt lgkmcnt(0)
	s_and_b32 s0, s0, 0x3ff
	s_delay_alu instid0(SALU_CYCLE_1) | instskip(NEXT) | instid1(SALU_CYCLE_1)
	s_bitset1_b32 s0, 10
	s_mov_b32 m0, s0
	s_sendmsg sendmsg(MSG_INTERRUPT)
	s_mov_b32 m0, ttmp2
.LBB4_1782:                             ; =>This Inner Loop Header: Depth=1
	s_sethalt 5
	s_branch .LBB4_1782
.LBB4_1783:
	s_trap 2
	s_sendmsg_rtn_b32 s0, sendmsg(MSG_RTN_GET_DOORBELL)
	s_mov_b32 ttmp2, m0
	s_waitcnt lgkmcnt(0)
	s_and_b32 s0, s0, 0x3ff
	s_delay_alu instid0(SALU_CYCLE_1) | instskip(NEXT) | instid1(SALU_CYCLE_1)
	s_bitset1_b32 s0, 10
	s_mov_b32 m0, s0
	s_sendmsg sendmsg(MSG_INTERRUPT)
	s_mov_b32 m0, ttmp2
.LBB4_1784:                             ; =>This Inner Loop Header: Depth=1
	s_sethalt 5
	s_branch .LBB4_1784
.LBB4_1785:
	s_trap 2
	s_sendmsg_rtn_b32 s0, sendmsg(MSG_RTN_GET_DOORBELL)
	s_mov_b32 ttmp2, m0
	s_waitcnt lgkmcnt(0)
	s_and_b32 s0, s0, 0x3ff
	s_delay_alu instid0(SALU_CYCLE_1) | instskip(NEXT) | instid1(SALU_CYCLE_1)
	s_bitset1_b32 s0, 10
	s_mov_b32 m0, s0
	s_sendmsg sendmsg(MSG_INTERRUPT)
	s_mov_b32 m0, ttmp2
.LBB4_1786:                             ; =>This Inner Loop Header: Depth=1
	s_sethalt 5
	s_branch .LBB4_1786
.LBB4_1787:
	s_trap 2
	s_sendmsg_rtn_b32 s0, sendmsg(MSG_RTN_GET_DOORBELL)
	s_mov_b32 ttmp2, m0
	s_waitcnt lgkmcnt(0)
	s_and_b32 s0, s0, 0x3ff
	s_delay_alu instid0(SALU_CYCLE_1) | instskip(NEXT) | instid1(SALU_CYCLE_1)
	s_bitset1_b32 s0, 10
	s_mov_b32 m0, s0
	s_sendmsg sendmsg(MSG_INTERRUPT)
	s_mov_b32 m0, ttmp2
.LBB4_1788:                             ; =>This Inner Loop Header: Depth=1
	s_sethalt 5
	s_branch .LBB4_1788
.LBB4_1789:
	s_trap 2
	s_sendmsg_rtn_b32 s0, sendmsg(MSG_RTN_GET_DOORBELL)
	s_mov_b32 ttmp2, m0
	s_waitcnt lgkmcnt(0)
	s_and_b32 s0, s0, 0x3ff
	s_delay_alu instid0(SALU_CYCLE_1) | instskip(NEXT) | instid1(SALU_CYCLE_1)
	s_bitset1_b32 s0, 10
	s_mov_b32 m0, s0
	s_sendmsg sendmsg(MSG_INTERRUPT)
	s_mov_b32 m0, ttmp2
.LBB4_1790:                             ; =>This Inner Loop Header: Depth=1
	s_sethalt 5
	s_branch .LBB4_1790
.LBB4_1791:
	s_trap 2
	s_sendmsg_rtn_b32 s0, sendmsg(MSG_RTN_GET_DOORBELL)
	s_mov_b32 ttmp2, m0
	s_waitcnt lgkmcnt(0)
	s_and_b32 s0, s0, 0x3ff
	s_delay_alu instid0(SALU_CYCLE_1) | instskip(NEXT) | instid1(SALU_CYCLE_1)
	s_bitset1_b32 s0, 10
	s_mov_b32 m0, s0
	s_sendmsg sendmsg(MSG_INTERRUPT)
	s_mov_b32 m0, ttmp2
.LBB4_1792:                             ; =>This Inner Loop Header: Depth=1
	s_sethalt 5
	s_branch .LBB4_1792
.LBB4_1793:
	s_trap 2
	s_sendmsg_rtn_b32 s0, sendmsg(MSG_RTN_GET_DOORBELL)
	s_mov_b32 ttmp2, m0
	s_waitcnt lgkmcnt(0)
	s_and_b32 s0, s0, 0x3ff
	s_delay_alu instid0(SALU_CYCLE_1) | instskip(NEXT) | instid1(SALU_CYCLE_1)
	s_bitset1_b32 s0, 10
	s_mov_b32 m0, s0
	s_sendmsg sendmsg(MSG_INTERRUPT)
	s_mov_b32 m0, ttmp2
.LBB4_1794:                             ; =>This Inner Loop Header: Depth=1
	s_sethalt 5
	s_branch .LBB4_1794
.LBB4_1795:
	s_trap 2
	s_sendmsg_rtn_b32 s0, sendmsg(MSG_RTN_GET_DOORBELL)
	s_mov_b32 ttmp2, m0
	s_waitcnt lgkmcnt(0)
	s_and_b32 s0, s0, 0x3ff
	s_delay_alu instid0(SALU_CYCLE_1) | instskip(NEXT) | instid1(SALU_CYCLE_1)
	s_bitset1_b32 s0, 10
	s_mov_b32 m0, s0
	s_sendmsg sendmsg(MSG_INTERRUPT)
	s_mov_b32 m0, ttmp2
.LBB4_1796:                             ; =>This Inner Loop Header: Depth=1
	s_sethalt 5
	s_branch .LBB4_1796
.LBB4_1797:
	s_trap 2
	s_sendmsg_rtn_b32 s0, sendmsg(MSG_RTN_GET_DOORBELL)
	s_mov_b32 ttmp2, m0
	s_waitcnt lgkmcnt(0)
	s_and_b32 s0, s0, 0x3ff
	s_delay_alu instid0(SALU_CYCLE_1) | instskip(NEXT) | instid1(SALU_CYCLE_1)
	s_bitset1_b32 s0, 10
	s_mov_b32 m0, s0
	s_sendmsg sendmsg(MSG_INTERRUPT)
	s_mov_b32 m0, ttmp2
.LBB4_1798:                             ; =>This Inner Loop Header: Depth=1
	s_sethalt 5
	s_branch .LBB4_1798
.LBB4_1799:
	s_trap 2
	s_sendmsg_rtn_b32 s0, sendmsg(MSG_RTN_GET_DOORBELL)
	s_mov_b32 ttmp2, m0
	s_waitcnt lgkmcnt(0)
	s_and_b32 s0, s0, 0x3ff
	s_delay_alu instid0(SALU_CYCLE_1) | instskip(NEXT) | instid1(SALU_CYCLE_1)
	s_bitset1_b32 s0, 10
	s_mov_b32 m0, s0
	s_sendmsg sendmsg(MSG_INTERRUPT)
	s_mov_b32 m0, ttmp2
.LBB4_1800:                             ; =>This Inner Loop Header: Depth=1
	s_sethalt 5
	s_branch .LBB4_1800
.LBB4_1801:
	s_trap 2
	s_sendmsg_rtn_b32 s0, sendmsg(MSG_RTN_GET_DOORBELL)
	s_mov_b32 ttmp2, m0
	s_waitcnt lgkmcnt(0)
	s_and_b32 s0, s0, 0x3ff
	s_delay_alu instid0(SALU_CYCLE_1) | instskip(NEXT) | instid1(SALU_CYCLE_1)
	s_bitset1_b32 s0, 10
	s_mov_b32 m0, s0
	s_sendmsg sendmsg(MSG_INTERRUPT)
	s_mov_b32 m0, ttmp2
.LBB4_1802:                             ; =>This Inner Loop Header: Depth=1
	s_sethalt 5
	s_branch .LBB4_1802
.LBB4_1803:
	s_trap 2
	s_sendmsg_rtn_b32 s0, sendmsg(MSG_RTN_GET_DOORBELL)
	s_mov_b32 ttmp2, m0
	s_waitcnt lgkmcnt(0)
	s_and_b32 s0, s0, 0x3ff
	s_delay_alu instid0(SALU_CYCLE_1) | instskip(NEXT) | instid1(SALU_CYCLE_1)
	s_bitset1_b32 s0, 10
	s_mov_b32 m0, s0
	s_sendmsg sendmsg(MSG_INTERRUPT)
	s_mov_b32 m0, ttmp2
.LBB4_1804:                             ; =>This Inner Loop Header: Depth=1
	s_sethalt 5
	s_branch .LBB4_1804
.LBB4_1805:
	s_trap 2
	s_sendmsg_rtn_b32 s0, sendmsg(MSG_RTN_GET_DOORBELL)
	s_mov_b32 ttmp2, m0
	s_waitcnt lgkmcnt(0)
	s_and_b32 s0, s0, 0x3ff
	s_delay_alu instid0(SALU_CYCLE_1) | instskip(NEXT) | instid1(SALU_CYCLE_1)
	s_bitset1_b32 s0, 10
	s_mov_b32 m0, s0
	s_sendmsg sendmsg(MSG_INTERRUPT)
	s_mov_b32 m0, ttmp2
.LBB4_1806:                             ; =>This Inner Loop Header: Depth=1
	s_sethalt 5
	s_branch .LBB4_1806
.LBB4_1807:
	s_trap 2
	s_sendmsg_rtn_b32 s0, sendmsg(MSG_RTN_GET_DOORBELL)
	s_mov_b32 ttmp2, m0
	s_waitcnt lgkmcnt(0)
	s_and_b32 s0, s0, 0x3ff
	s_delay_alu instid0(SALU_CYCLE_1) | instskip(NEXT) | instid1(SALU_CYCLE_1)
	s_bitset1_b32 s0, 10
	s_mov_b32 m0, s0
	s_sendmsg sendmsg(MSG_INTERRUPT)
	s_mov_b32 m0, ttmp2
.LBB4_1808:                             ; =>This Inner Loop Header: Depth=1
	s_sethalt 5
	s_branch .LBB4_1808
.LBB4_1809:
	s_trap 2
	s_sendmsg_rtn_b32 s0, sendmsg(MSG_RTN_GET_DOORBELL)
	s_mov_b32 ttmp2, m0
	s_waitcnt lgkmcnt(0)
	s_and_b32 s0, s0, 0x3ff
	s_delay_alu instid0(SALU_CYCLE_1) | instskip(NEXT) | instid1(SALU_CYCLE_1)
	s_bitset1_b32 s0, 10
	s_mov_b32 m0, s0
	s_sendmsg sendmsg(MSG_INTERRUPT)
	s_mov_b32 m0, ttmp2
.LBB4_1810:                             ; =>This Inner Loop Header: Depth=1
	s_sethalt 5
	s_branch .LBB4_1810
.LBB4_1811:
	s_trap 2
	s_sendmsg_rtn_b32 s0, sendmsg(MSG_RTN_GET_DOORBELL)
	s_mov_b32 ttmp2, m0
	s_waitcnt lgkmcnt(0)
	s_and_b32 s0, s0, 0x3ff
	s_delay_alu instid0(SALU_CYCLE_1) | instskip(NEXT) | instid1(SALU_CYCLE_1)
	s_bitset1_b32 s0, 10
	s_mov_b32 m0, s0
	s_sendmsg sendmsg(MSG_INTERRUPT)
	s_mov_b32 m0, ttmp2
.LBB4_1812:                             ; =>This Inner Loop Header: Depth=1
	s_sethalt 5
	s_branch .LBB4_1812
.LBB4_1813:
	s_trap 2
	s_sendmsg_rtn_b32 s0, sendmsg(MSG_RTN_GET_DOORBELL)
	s_mov_b32 ttmp2, m0
	s_waitcnt lgkmcnt(0)
	s_and_b32 s0, s0, 0x3ff
	s_delay_alu instid0(SALU_CYCLE_1) | instskip(NEXT) | instid1(SALU_CYCLE_1)
	s_bitset1_b32 s0, 10
	s_mov_b32 m0, s0
	s_sendmsg sendmsg(MSG_INTERRUPT)
	s_mov_b32 m0, ttmp2
.LBB4_1814:                             ; =>This Inner Loop Header: Depth=1
	s_sethalt 5
	s_branch .LBB4_1814
.LBB4_1815:
	s_trap 2
	s_sendmsg_rtn_b32 s0, sendmsg(MSG_RTN_GET_DOORBELL)
	s_mov_b32 ttmp2, m0
	s_waitcnt lgkmcnt(0)
	s_and_b32 s0, s0, 0x3ff
	s_delay_alu instid0(SALU_CYCLE_1) | instskip(NEXT) | instid1(SALU_CYCLE_1)
	s_bitset1_b32 s0, 10
	s_mov_b32 m0, s0
	s_sendmsg sendmsg(MSG_INTERRUPT)
	s_mov_b32 m0, ttmp2
.LBB4_1816:                             ; =>This Inner Loop Header: Depth=1
	s_sethalt 5
	s_branch .LBB4_1816
.LBB4_1817:
	s_trap 2
	s_sendmsg_rtn_b32 s0, sendmsg(MSG_RTN_GET_DOORBELL)
	s_mov_b32 ttmp2, m0
	s_waitcnt lgkmcnt(0)
	s_and_b32 s0, s0, 0x3ff
	s_delay_alu instid0(SALU_CYCLE_1) | instskip(NEXT) | instid1(SALU_CYCLE_1)
	s_bitset1_b32 s0, 10
	s_mov_b32 m0, s0
	s_sendmsg sendmsg(MSG_INTERRUPT)
	s_mov_b32 m0, ttmp2
.LBB4_1818:                             ; =>This Inner Loop Header: Depth=1
	s_sethalt 5
	s_branch .LBB4_1818
.LBB4_1819:
	s_trap 2
	s_sendmsg_rtn_b32 s0, sendmsg(MSG_RTN_GET_DOORBELL)
	s_mov_b32 ttmp2, m0
	s_waitcnt lgkmcnt(0)
	s_and_b32 s0, s0, 0x3ff
	s_delay_alu instid0(SALU_CYCLE_1) | instskip(NEXT) | instid1(SALU_CYCLE_1)
	s_bitset1_b32 s0, 10
	s_mov_b32 m0, s0
	s_sendmsg sendmsg(MSG_INTERRUPT)
	s_mov_b32 m0, ttmp2
.LBB4_1820:                             ; =>This Inner Loop Header: Depth=1
	s_sethalt 5
	s_branch .LBB4_1820
.LBB4_1821:
	s_trap 2
	s_sendmsg_rtn_b32 s0, sendmsg(MSG_RTN_GET_DOORBELL)
	s_mov_b32 ttmp2, m0
	s_waitcnt lgkmcnt(0)
	s_and_b32 s0, s0, 0x3ff
	s_delay_alu instid0(SALU_CYCLE_1) | instskip(NEXT) | instid1(SALU_CYCLE_1)
	s_bitset1_b32 s0, 10
	s_mov_b32 m0, s0
	s_sendmsg sendmsg(MSG_INTERRUPT)
	s_mov_b32 m0, ttmp2
.LBB4_1822:                             ; =>This Inner Loop Header: Depth=1
	s_sethalt 5
	s_branch .LBB4_1822
.LBB4_1823:
	s_trap 2
	s_sendmsg_rtn_b32 s0, sendmsg(MSG_RTN_GET_DOORBELL)
	s_mov_b32 ttmp2, m0
	s_waitcnt lgkmcnt(0)
	s_and_b32 s0, s0, 0x3ff
	s_delay_alu instid0(SALU_CYCLE_1) | instskip(NEXT) | instid1(SALU_CYCLE_1)
	s_bitset1_b32 s0, 10
	s_mov_b32 m0, s0
	s_sendmsg sendmsg(MSG_INTERRUPT)
	s_mov_b32 m0, ttmp2
.LBB4_1824:                             ; =>This Inner Loop Header: Depth=1
	s_sethalt 5
	s_branch .LBB4_1824
.LBB4_1825:
	s_trap 2
	s_sendmsg_rtn_b32 s0, sendmsg(MSG_RTN_GET_DOORBELL)
	s_mov_b32 ttmp2, m0
	s_waitcnt lgkmcnt(0)
	s_and_b32 s0, s0, 0x3ff
	s_delay_alu instid0(SALU_CYCLE_1) | instskip(NEXT) | instid1(SALU_CYCLE_1)
	s_bitset1_b32 s0, 10
	s_mov_b32 m0, s0
	s_sendmsg sendmsg(MSG_INTERRUPT)
	s_mov_b32 m0, ttmp2
.LBB4_1826:                             ; =>This Inner Loop Header: Depth=1
	s_sethalt 5
	s_branch .LBB4_1826
.LBB4_1827:
	s_trap 2
	s_sendmsg_rtn_b32 s0, sendmsg(MSG_RTN_GET_DOORBELL)
	s_mov_b32 ttmp2, m0
	s_waitcnt lgkmcnt(0)
	s_and_b32 s0, s0, 0x3ff
	s_delay_alu instid0(SALU_CYCLE_1) | instskip(NEXT) | instid1(SALU_CYCLE_1)
	s_bitset1_b32 s0, 10
	s_mov_b32 m0, s0
	s_sendmsg sendmsg(MSG_INTERRUPT)
	s_mov_b32 m0, ttmp2
.LBB4_1828:                             ; =>This Inner Loop Header: Depth=1
	s_sethalt 5
	s_branch .LBB4_1828
.LBB4_1829:
	s_trap 2
	s_sendmsg_rtn_b32 s0, sendmsg(MSG_RTN_GET_DOORBELL)
	s_mov_b32 ttmp2, m0
	s_waitcnt lgkmcnt(0)
	s_and_b32 s0, s0, 0x3ff
	s_delay_alu instid0(SALU_CYCLE_1) | instskip(NEXT) | instid1(SALU_CYCLE_1)
	s_bitset1_b32 s0, 10
	s_mov_b32 m0, s0
	s_sendmsg sendmsg(MSG_INTERRUPT)
	s_mov_b32 m0, ttmp2
.LBB4_1830:                             ; =>This Inner Loop Header: Depth=1
	s_sethalt 5
	s_branch .LBB4_1830
.LBB4_1831:
	s_trap 2
	s_sendmsg_rtn_b32 s0, sendmsg(MSG_RTN_GET_DOORBELL)
	s_mov_b32 ttmp2, m0
	s_waitcnt lgkmcnt(0)
	s_and_b32 s0, s0, 0x3ff
	s_delay_alu instid0(SALU_CYCLE_1) | instskip(NEXT) | instid1(SALU_CYCLE_1)
	s_bitset1_b32 s0, 10
	s_mov_b32 m0, s0
	s_sendmsg sendmsg(MSG_INTERRUPT)
	s_mov_b32 m0, ttmp2
.LBB4_1832:                             ; =>This Inner Loop Header: Depth=1
	s_sethalt 5
	s_branch .LBB4_1832
.LBB4_1833:
	s_trap 2
	s_sendmsg_rtn_b32 s0, sendmsg(MSG_RTN_GET_DOORBELL)
	s_mov_b32 ttmp2, m0
	s_waitcnt lgkmcnt(0)
	s_and_b32 s0, s0, 0x3ff
	s_delay_alu instid0(SALU_CYCLE_1) | instskip(NEXT) | instid1(SALU_CYCLE_1)
	s_bitset1_b32 s0, 10
	s_mov_b32 m0, s0
	s_sendmsg sendmsg(MSG_INTERRUPT)
	s_mov_b32 m0, ttmp2
.LBB4_1834:                             ; =>This Inner Loop Header: Depth=1
	s_sethalt 5
	s_branch .LBB4_1834
.LBB4_1835:
	s_trap 2
	s_sendmsg_rtn_b32 s0, sendmsg(MSG_RTN_GET_DOORBELL)
	s_mov_b32 ttmp2, m0
	s_waitcnt lgkmcnt(0)
	s_and_b32 s0, s0, 0x3ff
	s_delay_alu instid0(SALU_CYCLE_1) | instskip(NEXT) | instid1(SALU_CYCLE_1)
	s_bitset1_b32 s0, 10
	s_mov_b32 m0, s0
	s_sendmsg sendmsg(MSG_INTERRUPT)
	s_mov_b32 m0, ttmp2
.LBB4_1836:                             ; =>This Inner Loop Header: Depth=1
	s_sethalt 5
	s_branch .LBB4_1836
.LBB4_1837:
	s_trap 2
	s_sendmsg_rtn_b32 s0, sendmsg(MSG_RTN_GET_DOORBELL)
	s_mov_b32 ttmp2, m0
	s_waitcnt lgkmcnt(0)
	s_and_b32 s0, s0, 0x3ff
	s_delay_alu instid0(SALU_CYCLE_1) | instskip(NEXT) | instid1(SALU_CYCLE_1)
	s_bitset1_b32 s0, 10
	s_mov_b32 m0, s0
	s_sendmsg sendmsg(MSG_INTERRUPT)
	s_mov_b32 m0, ttmp2
.LBB4_1838:                             ; =>This Inner Loop Header: Depth=1
	s_sethalt 5
	s_branch .LBB4_1838
.LBB4_1839:
	s_trap 2
	s_sendmsg_rtn_b32 s0, sendmsg(MSG_RTN_GET_DOORBELL)
	s_mov_b32 ttmp2, m0
	s_waitcnt lgkmcnt(0)
	s_and_b32 s0, s0, 0x3ff
	s_delay_alu instid0(SALU_CYCLE_1) | instskip(NEXT) | instid1(SALU_CYCLE_1)
	s_bitset1_b32 s0, 10
	s_mov_b32 m0, s0
	s_sendmsg sendmsg(MSG_INTERRUPT)
	s_mov_b32 m0, ttmp2
.LBB4_1840:                             ; =>This Inner Loop Header: Depth=1
	s_sethalt 5
	s_branch .LBB4_1840
.LBB4_1841:
	s_trap 2
	s_sendmsg_rtn_b32 s0, sendmsg(MSG_RTN_GET_DOORBELL)
	s_mov_b32 ttmp2, m0
	s_waitcnt lgkmcnt(0)
	s_and_b32 s0, s0, 0x3ff
	s_delay_alu instid0(SALU_CYCLE_1) | instskip(NEXT) | instid1(SALU_CYCLE_1)
	s_bitset1_b32 s0, 10
	s_mov_b32 m0, s0
	s_sendmsg sendmsg(MSG_INTERRUPT)
	s_mov_b32 m0, ttmp2
.LBB4_1842:                             ; =>This Inner Loop Header: Depth=1
	s_sethalt 5
	s_branch .LBB4_1842
.LBB4_1843:
	s_trap 2
	s_sendmsg_rtn_b32 s0, sendmsg(MSG_RTN_GET_DOORBELL)
	s_mov_b32 ttmp2, m0
	s_waitcnt lgkmcnt(0)
	s_and_b32 s0, s0, 0x3ff
	s_delay_alu instid0(SALU_CYCLE_1) | instskip(NEXT) | instid1(SALU_CYCLE_1)
	s_bitset1_b32 s0, 10
	s_mov_b32 m0, s0
	s_sendmsg sendmsg(MSG_INTERRUPT)
	s_mov_b32 m0, ttmp2
.LBB4_1844:                             ; =>This Inner Loop Header: Depth=1
	s_sethalt 5
	s_branch .LBB4_1844
.LBB4_1845:
	s_trap 2
	s_sendmsg_rtn_b32 s0, sendmsg(MSG_RTN_GET_DOORBELL)
	s_mov_b32 ttmp2, m0
	s_waitcnt lgkmcnt(0)
	s_and_b32 s0, s0, 0x3ff
	s_delay_alu instid0(SALU_CYCLE_1) | instskip(NEXT) | instid1(SALU_CYCLE_1)
	s_bitset1_b32 s0, 10
	s_mov_b32 m0, s0
	s_sendmsg sendmsg(MSG_INTERRUPT)
	s_mov_b32 m0, ttmp2
.LBB4_1846:                             ; =>This Inner Loop Header: Depth=1
	s_sethalt 5
	s_branch .LBB4_1846
.LBB4_1847:
	s_trap 2
	s_sendmsg_rtn_b32 s0, sendmsg(MSG_RTN_GET_DOORBELL)
	s_mov_b32 ttmp2, m0
	s_waitcnt lgkmcnt(0)
	s_and_b32 s0, s0, 0x3ff
	s_delay_alu instid0(SALU_CYCLE_1) | instskip(NEXT) | instid1(SALU_CYCLE_1)
	s_bitset1_b32 s0, 10
	s_mov_b32 m0, s0
	s_sendmsg sendmsg(MSG_INTERRUPT)
	s_mov_b32 m0, ttmp2
.LBB4_1848:                             ; =>This Inner Loop Header: Depth=1
	s_sethalt 5
	s_branch .LBB4_1848
.LBB4_1849:
	s_trap 2
	s_sendmsg_rtn_b32 s0, sendmsg(MSG_RTN_GET_DOORBELL)
	s_mov_b32 ttmp2, m0
	s_waitcnt lgkmcnt(0)
	s_and_b32 s0, s0, 0x3ff
	s_delay_alu instid0(SALU_CYCLE_1) | instskip(NEXT) | instid1(SALU_CYCLE_1)
	s_bitset1_b32 s0, 10
	s_mov_b32 m0, s0
	s_sendmsg sendmsg(MSG_INTERRUPT)
	s_mov_b32 m0, ttmp2
.LBB4_1850:                             ; =>This Inner Loop Header: Depth=1
	s_sethalt 5
	s_branch .LBB4_1850
.LBB4_1851:
	s_trap 2
	s_sendmsg_rtn_b32 s0, sendmsg(MSG_RTN_GET_DOORBELL)
	s_mov_b32 ttmp2, m0
	s_waitcnt lgkmcnt(0)
	s_and_b32 s0, s0, 0x3ff
	s_delay_alu instid0(SALU_CYCLE_1) | instskip(NEXT) | instid1(SALU_CYCLE_1)
	s_bitset1_b32 s0, 10
	s_mov_b32 m0, s0
	s_sendmsg sendmsg(MSG_INTERRUPT)
	s_mov_b32 m0, ttmp2
.LBB4_1852:                             ; =>This Inner Loop Header: Depth=1
	s_sethalt 5
	s_branch .LBB4_1852
.LBB4_1853:
	s_trap 2
	s_sendmsg_rtn_b32 s0, sendmsg(MSG_RTN_GET_DOORBELL)
	s_mov_b32 ttmp2, m0
	s_waitcnt lgkmcnt(0)
	s_and_b32 s0, s0, 0x3ff
	s_delay_alu instid0(SALU_CYCLE_1) | instskip(NEXT) | instid1(SALU_CYCLE_1)
	s_bitset1_b32 s0, 10
	s_mov_b32 m0, s0
	s_sendmsg sendmsg(MSG_INTERRUPT)
	s_mov_b32 m0, ttmp2
.LBB4_1854:                             ; =>This Inner Loop Header: Depth=1
	s_sethalt 5
	s_branch .LBB4_1854
.LBB4_1855:
	s_trap 2
	s_sendmsg_rtn_b32 s0, sendmsg(MSG_RTN_GET_DOORBELL)
	s_mov_b32 ttmp2, m0
	s_waitcnt lgkmcnt(0)
	s_and_b32 s0, s0, 0x3ff
	s_delay_alu instid0(SALU_CYCLE_1) | instskip(NEXT) | instid1(SALU_CYCLE_1)
	s_bitset1_b32 s0, 10
	s_mov_b32 m0, s0
	s_sendmsg sendmsg(MSG_INTERRUPT)
	s_mov_b32 m0, ttmp2
.LBB4_1856:                             ; =>This Inner Loop Header: Depth=1
	s_sethalt 5
	s_branch .LBB4_1856
.LBB4_1857:
	s_trap 2
	s_sendmsg_rtn_b32 s0, sendmsg(MSG_RTN_GET_DOORBELL)
	s_mov_b32 ttmp2, m0
	s_waitcnt lgkmcnt(0)
	s_and_b32 s0, s0, 0x3ff
	s_delay_alu instid0(SALU_CYCLE_1) | instskip(NEXT) | instid1(SALU_CYCLE_1)
	s_bitset1_b32 s0, 10
	s_mov_b32 m0, s0
	s_sendmsg sendmsg(MSG_INTERRUPT)
	s_mov_b32 m0, ttmp2
.LBB4_1858:                             ; =>This Inner Loop Header: Depth=1
	s_sethalt 5
	s_branch .LBB4_1858
.LBB4_1859:
	s_trap 2
	s_sendmsg_rtn_b32 s0, sendmsg(MSG_RTN_GET_DOORBELL)
	s_mov_b32 ttmp2, m0
	s_waitcnt lgkmcnt(0)
	s_and_b32 s0, s0, 0x3ff
	s_delay_alu instid0(SALU_CYCLE_1) | instskip(NEXT) | instid1(SALU_CYCLE_1)
	s_bitset1_b32 s0, 10
	s_mov_b32 m0, s0
	s_sendmsg sendmsg(MSG_INTERRUPT)
	s_mov_b32 m0, ttmp2
.LBB4_1860:                             ; =>This Inner Loop Header: Depth=1
	s_sethalt 5
	s_branch .LBB4_1860
.LBB4_1861:
	s_trap 2
	s_sendmsg_rtn_b32 s0, sendmsg(MSG_RTN_GET_DOORBELL)
	s_mov_b32 ttmp2, m0
	s_waitcnt lgkmcnt(0)
	s_and_b32 s0, s0, 0x3ff
	s_delay_alu instid0(SALU_CYCLE_1) | instskip(NEXT) | instid1(SALU_CYCLE_1)
	s_bitset1_b32 s0, 10
	s_mov_b32 m0, s0
	s_sendmsg sendmsg(MSG_INTERRUPT)
	s_mov_b32 m0, ttmp2
.LBB4_1862:                             ; =>This Inner Loop Header: Depth=1
	s_sethalt 5
	s_branch .LBB4_1862
.LBB4_1863:
	s_trap 2
	s_sendmsg_rtn_b32 s0, sendmsg(MSG_RTN_GET_DOORBELL)
	s_mov_b32 ttmp2, m0
	s_waitcnt lgkmcnt(0)
	s_and_b32 s0, s0, 0x3ff
	s_delay_alu instid0(SALU_CYCLE_1) | instskip(NEXT) | instid1(SALU_CYCLE_1)
	s_bitset1_b32 s0, 10
	s_mov_b32 m0, s0
	s_sendmsg sendmsg(MSG_INTERRUPT)
	s_mov_b32 m0, ttmp2
.LBB4_1864:                             ; =>This Inner Loop Header: Depth=1
	s_sethalt 5
	s_branch .LBB4_1864
.LBB4_1865:
	s_trap 2
	s_sendmsg_rtn_b32 s0, sendmsg(MSG_RTN_GET_DOORBELL)
	s_mov_b32 ttmp2, m0
	s_waitcnt lgkmcnt(0)
	s_and_b32 s0, s0, 0x3ff
	s_delay_alu instid0(SALU_CYCLE_1) | instskip(NEXT) | instid1(SALU_CYCLE_1)
	s_bitset1_b32 s0, 10
	s_mov_b32 m0, s0
	s_sendmsg sendmsg(MSG_INTERRUPT)
	s_mov_b32 m0, ttmp2
.LBB4_1866:                             ; =>This Inner Loop Header: Depth=1
	s_sethalt 5
	s_branch .LBB4_1866
.LBB4_1867:
	s_trap 2
	s_sendmsg_rtn_b32 s0, sendmsg(MSG_RTN_GET_DOORBELL)
	s_mov_b32 ttmp2, m0
	s_waitcnt lgkmcnt(0)
	s_and_b32 s0, s0, 0x3ff
	s_delay_alu instid0(SALU_CYCLE_1) | instskip(NEXT) | instid1(SALU_CYCLE_1)
	s_bitset1_b32 s0, 10
	s_mov_b32 m0, s0
	s_sendmsg sendmsg(MSG_INTERRUPT)
	s_mov_b32 m0, ttmp2
.LBB4_1868:                             ; =>This Inner Loop Header: Depth=1
	s_sethalt 5
	s_branch .LBB4_1868
.LBB4_1869:
	s_trap 2
	s_sendmsg_rtn_b32 s0, sendmsg(MSG_RTN_GET_DOORBELL)
	s_mov_b32 ttmp2, m0
	s_waitcnt lgkmcnt(0)
	s_and_b32 s0, s0, 0x3ff
	s_delay_alu instid0(SALU_CYCLE_1) | instskip(NEXT) | instid1(SALU_CYCLE_1)
	s_bitset1_b32 s0, 10
	s_mov_b32 m0, s0
	s_sendmsg sendmsg(MSG_INTERRUPT)
	s_mov_b32 m0, ttmp2
.LBB4_1870:                             ; =>This Inner Loop Header: Depth=1
	s_sethalt 5
	s_branch .LBB4_1870
.LBB4_1871:
	s_trap 2
	s_sendmsg_rtn_b32 s0, sendmsg(MSG_RTN_GET_DOORBELL)
	s_mov_b32 ttmp2, m0
	s_waitcnt lgkmcnt(0)
	s_and_b32 s0, s0, 0x3ff
	s_delay_alu instid0(SALU_CYCLE_1) | instskip(NEXT) | instid1(SALU_CYCLE_1)
	s_bitset1_b32 s0, 10
	s_mov_b32 m0, s0
	s_sendmsg sendmsg(MSG_INTERRUPT)
	s_mov_b32 m0, ttmp2
.LBB4_1872:                             ; =>This Inner Loop Header: Depth=1
	s_sethalt 5
	s_branch .LBB4_1872
.LBB4_1873:
	s_trap 2
	s_sendmsg_rtn_b32 s0, sendmsg(MSG_RTN_GET_DOORBELL)
	s_mov_b32 ttmp2, m0
	s_waitcnt lgkmcnt(0)
	s_and_b32 s0, s0, 0x3ff
	s_delay_alu instid0(SALU_CYCLE_1) | instskip(NEXT) | instid1(SALU_CYCLE_1)
	s_bitset1_b32 s0, 10
	s_mov_b32 m0, s0
	s_sendmsg sendmsg(MSG_INTERRUPT)
	s_mov_b32 m0, ttmp2
.LBB4_1874:                             ; =>This Inner Loop Header: Depth=1
	s_sethalt 5
	s_branch .LBB4_1874
.LBB4_1875:
	s_trap 2
	s_sendmsg_rtn_b32 s0, sendmsg(MSG_RTN_GET_DOORBELL)
	s_mov_b32 ttmp2, m0
	s_waitcnt lgkmcnt(0)
	s_and_b32 s0, s0, 0x3ff
	s_delay_alu instid0(SALU_CYCLE_1) | instskip(NEXT) | instid1(SALU_CYCLE_1)
	s_bitset1_b32 s0, 10
	s_mov_b32 m0, s0
	s_sendmsg sendmsg(MSG_INTERRUPT)
	s_mov_b32 m0, ttmp2
.LBB4_1876:                             ; =>This Inner Loop Header: Depth=1
	s_sethalt 5
	s_branch .LBB4_1876
.LBB4_1877:
	s_trap 2
	s_sendmsg_rtn_b32 s0, sendmsg(MSG_RTN_GET_DOORBELL)
	s_mov_b32 ttmp2, m0
	s_waitcnt lgkmcnt(0)
	s_and_b32 s0, s0, 0x3ff
	s_delay_alu instid0(SALU_CYCLE_1) | instskip(NEXT) | instid1(SALU_CYCLE_1)
	s_bitset1_b32 s0, 10
	s_mov_b32 m0, s0
	s_sendmsg sendmsg(MSG_INTERRUPT)
	s_mov_b32 m0, ttmp2
.LBB4_1878:                             ; =>This Inner Loop Header: Depth=1
	s_sethalt 5
	s_branch .LBB4_1878
.LBB4_1879:
	s_trap 2
	s_sendmsg_rtn_b32 s0, sendmsg(MSG_RTN_GET_DOORBELL)
	s_mov_b32 ttmp2, m0
	s_waitcnt lgkmcnt(0)
	s_and_b32 s0, s0, 0x3ff
	s_delay_alu instid0(SALU_CYCLE_1) | instskip(NEXT) | instid1(SALU_CYCLE_1)
	s_bitset1_b32 s0, 10
	s_mov_b32 m0, s0
	s_sendmsg sendmsg(MSG_INTERRUPT)
	s_mov_b32 m0, ttmp2
.LBB4_1880:                             ; =>This Inner Loop Header: Depth=1
	s_sethalt 5
	s_branch .LBB4_1880
.LBB4_1881:
	s_trap 2
	s_sendmsg_rtn_b32 s0, sendmsg(MSG_RTN_GET_DOORBELL)
	s_mov_b32 ttmp2, m0
	s_waitcnt lgkmcnt(0)
	s_and_b32 s0, s0, 0x3ff
	s_delay_alu instid0(SALU_CYCLE_1) | instskip(NEXT) | instid1(SALU_CYCLE_1)
	s_bitset1_b32 s0, 10
	s_mov_b32 m0, s0
	s_sendmsg sendmsg(MSG_INTERRUPT)
	s_mov_b32 m0, ttmp2
.LBB4_1882:                             ; =>This Inner Loop Header: Depth=1
	s_sethalt 5
	s_branch .LBB4_1882
.LBB4_1883:
	s_trap 2
	s_sendmsg_rtn_b32 s0, sendmsg(MSG_RTN_GET_DOORBELL)
	s_mov_b32 ttmp2, m0
	s_waitcnt lgkmcnt(0)
	s_and_b32 s0, s0, 0x3ff
	s_delay_alu instid0(SALU_CYCLE_1) | instskip(NEXT) | instid1(SALU_CYCLE_1)
	s_bitset1_b32 s0, 10
	s_mov_b32 m0, s0
	s_sendmsg sendmsg(MSG_INTERRUPT)
	s_mov_b32 m0, ttmp2
.LBB4_1884:                             ; =>This Inner Loop Header: Depth=1
	s_sethalt 5
	s_branch .LBB4_1884
.LBB4_1885:
	s_trap 2
	s_sendmsg_rtn_b32 s0, sendmsg(MSG_RTN_GET_DOORBELL)
	s_mov_b32 ttmp2, m0
	s_waitcnt lgkmcnt(0)
	s_and_b32 s0, s0, 0x3ff
	s_delay_alu instid0(SALU_CYCLE_1) | instskip(NEXT) | instid1(SALU_CYCLE_1)
	s_bitset1_b32 s0, 10
	s_mov_b32 m0, s0
	s_sendmsg sendmsg(MSG_INTERRUPT)
	s_mov_b32 m0, ttmp2
.LBB4_1886:                             ; =>This Inner Loop Header: Depth=1
	s_sethalt 5
	s_branch .LBB4_1886
.LBB4_1887:
	s_trap 2
	s_sendmsg_rtn_b32 s0, sendmsg(MSG_RTN_GET_DOORBELL)
	s_mov_b32 ttmp2, m0
	s_waitcnt lgkmcnt(0)
	s_and_b32 s0, s0, 0x3ff
	s_delay_alu instid0(SALU_CYCLE_1) | instskip(NEXT) | instid1(SALU_CYCLE_1)
	s_bitset1_b32 s0, 10
	s_mov_b32 m0, s0
	s_sendmsg sendmsg(MSG_INTERRUPT)
	s_mov_b32 m0, ttmp2
.LBB4_1888:                             ; =>This Inner Loop Header: Depth=1
	s_sethalt 5
	s_branch .LBB4_1888
.LBB4_1889:
	s_trap 2
	s_sendmsg_rtn_b32 s0, sendmsg(MSG_RTN_GET_DOORBELL)
	s_mov_b32 ttmp2, m0
	s_waitcnt lgkmcnt(0)
	s_and_b32 s0, s0, 0x3ff
	s_delay_alu instid0(SALU_CYCLE_1) | instskip(NEXT) | instid1(SALU_CYCLE_1)
	s_bitset1_b32 s0, 10
	s_mov_b32 m0, s0
	s_sendmsg sendmsg(MSG_INTERRUPT)
	s_mov_b32 m0, ttmp2
.LBB4_1890:                             ; =>This Inner Loop Header: Depth=1
	s_sethalt 5
	s_branch .LBB4_1890
.LBB4_1891:
	s_trap 2
	s_sendmsg_rtn_b32 s0, sendmsg(MSG_RTN_GET_DOORBELL)
	s_mov_b32 ttmp2, m0
	s_waitcnt lgkmcnt(0)
	s_and_b32 s0, s0, 0x3ff
	s_delay_alu instid0(SALU_CYCLE_1) | instskip(NEXT) | instid1(SALU_CYCLE_1)
	s_bitset1_b32 s0, 10
	s_mov_b32 m0, s0
	s_sendmsg sendmsg(MSG_INTERRUPT)
	s_mov_b32 m0, ttmp2
.LBB4_1892:                             ; =>This Inner Loop Header: Depth=1
	s_sethalt 5
	s_branch .LBB4_1892
.LBB4_1893:
	s_trap 2
	s_sendmsg_rtn_b32 s0, sendmsg(MSG_RTN_GET_DOORBELL)
	s_mov_b32 ttmp2, m0
	s_waitcnt lgkmcnt(0)
	s_and_b32 s0, s0, 0x3ff
	s_delay_alu instid0(SALU_CYCLE_1) | instskip(NEXT) | instid1(SALU_CYCLE_1)
	s_bitset1_b32 s0, 10
	s_mov_b32 m0, s0
	s_sendmsg sendmsg(MSG_INTERRUPT)
	s_mov_b32 m0, ttmp2
.LBB4_1894:                             ; =>This Inner Loop Header: Depth=1
	s_sethalt 5
	s_branch .LBB4_1894
.LBB4_1895:
	s_trap 2
	s_sendmsg_rtn_b32 s0, sendmsg(MSG_RTN_GET_DOORBELL)
	s_mov_b32 ttmp2, m0
	s_waitcnt lgkmcnt(0)
	s_and_b32 s0, s0, 0x3ff
	s_delay_alu instid0(SALU_CYCLE_1) | instskip(NEXT) | instid1(SALU_CYCLE_1)
	s_bitset1_b32 s0, 10
	s_mov_b32 m0, s0
	s_sendmsg sendmsg(MSG_INTERRUPT)
	s_mov_b32 m0, ttmp2
.LBB4_1896:                             ; =>This Inner Loop Header: Depth=1
	s_sethalt 5
	s_branch .LBB4_1896
.LBB4_1897:
	s_trap 2
	s_sendmsg_rtn_b32 s0, sendmsg(MSG_RTN_GET_DOORBELL)
	s_mov_b32 ttmp2, m0
	s_waitcnt lgkmcnt(0)
	s_and_b32 s0, s0, 0x3ff
	s_delay_alu instid0(SALU_CYCLE_1) | instskip(NEXT) | instid1(SALU_CYCLE_1)
	s_bitset1_b32 s0, 10
	s_mov_b32 m0, s0
	s_sendmsg sendmsg(MSG_INTERRUPT)
	s_mov_b32 m0, ttmp2
.LBB4_1898:                             ; =>This Inner Loop Header: Depth=1
	s_sethalt 5
	s_branch .LBB4_1898
.LBB4_1899:
	s_trap 2
	s_sendmsg_rtn_b32 s0, sendmsg(MSG_RTN_GET_DOORBELL)
	s_mov_b32 ttmp2, m0
	s_waitcnt lgkmcnt(0)
	s_and_b32 s0, s0, 0x3ff
	s_delay_alu instid0(SALU_CYCLE_1) | instskip(NEXT) | instid1(SALU_CYCLE_1)
	s_bitset1_b32 s0, 10
	s_mov_b32 m0, s0
	s_sendmsg sendmsg(MSG_INTERRUPT)
	s_mov_b32 m0, ttmp2
.LBB4_1900:                             ; =>This Inner Loop Header: Depth=1
	s_sethalt 5
	s_branch .LBB4_1900
.LBB4_1901:
	s_trap 2
	s_sendmsg_rtn_b32 s0, sendmsg(MSG_RTN_GET_DOORBELL)
	s_mov_b32 ttmp2, m0
	s_waitcnt lgkmcnt(0)
	s_and_b32 s0, s0, 0x3ff
	s_delay_alu instid0(SALU_CYCLE_1) | instskip(NEXT) | instid1(SALU_CYCLE_1)
	s_bitset1_b32 s0, 10
	s_mov_b32 m0, s0
	s_sendmsg sendmsg(MSG_INTERRUPT)
	s_mov_b32 m0, ttmp2
.LBB4_1902:                             ; =>This Inner Loop Header: Depth=1
	s_sethalt 5
	s_branch .LBB4_1902
.LBB4_1903:
	s_trap 2
	s_sendmsg_rtn_b32 s0, sendmsg(MSG_RTN_GET_DOORBELL)
	s_mov_b32 ttmp2, m0
	s_waitcnt lgkmcnt(0)
	s_and_b32 s0, s0, 0x3ff
	s_delay_alu instid0(SALU_CYCLE_1) | instskip(NEXT) | instid1(SALU_CYCLE_1)
	s_bitset1_b32 s0, 10
	s_mov_b32 m0, s0
	s_sendmsg sendmsg(MSG_INTERRUPT)
	s_mov_b32 m0, ttmp2
.LBB4_1904:                             ; =>This Inner Loop Header: Depth=1
	s_sethalt 5
	s_branch .LBB4_1904
.LBB4_1905:
	s_trap 2
	s_sendmsg_rtn_b32 s0, sendmsg(MSG_RTN_GET_DOORBELL)
	s_mov_b32 ttmp2, m0
	s_waitcnt lgkmcnt(0)
	s_and_b32 s0, s0, 0x3ff
	s_delay_alu instid0(SALU_CYCLE_1) | instskip(NEXT) | instid1(SALU_CYCLE_1)
	s_bitset1_b32 s0, 10
	s_mov_b32 m0, s0
	s_sendmsg sendmsg(MSG_INTERRUPT)
	s_mov_b32 m0, ttmp2
.LBB4_1906:                             ; =>This Inner Loop Header: Depth=1
	s_sethalt 5
	s_branch .LBB4_1906
.LBB4_1907:
	s_trap 2
	s_sendmsg_rtn_b32 s0, sendmsg(MSG_RTN_GET_DOORBELL)
	s_mov_b32 ttmp2, m0
	s_waitcnt lgkmcnt(0)
	s_and_b32 s0, s0, 0x3ff
	s_delay_alu instid0(SALU_CYCLE_1) | instskip(NEXT) | instid1(SALU_CYCLE_1)
	s_bitset1_b32 s0, 10
	s_mov_b32 m0, s0
	s_sendmsg sendmsg(MSG_INTERRUPT)
	s_mov_b32 m0, ttmp2
.LBB4_1908:                             ; =>This Inner Loop Header: Depth=1
	s_sethalt 5
	s_branch .LBB4_1908
.LBB4_1909:
	s_trap 2
	s_sendmsg_rtn_b32 s0, sendmsg(MSG_RTN_GET_DOORBELL)
	s_mov_b32 ttmp2, m0
	s_waitcnt lgkmcnt(0)
	s_and_b32 s0, s0, 0x3ff
	s_delay_alu instid0(SALU_CYCLE_1) | instskip(NEXT) | instid1(SALU_CYCLE_1)
	s_bitset1_b32 s0, 10
	s_mov_b32 m0, s0
	s_sendmsg sendmsg(MSG_INTERRUPT)
	s_mov_b32 m0, ttmp2
.LBB4_1910:                             ; =>This Inner Loop Header: Depth=1
	s_sethalt 5
	s_branch .LBB4_1910
.LBB4_1911:
	s_trap 2
	s_sendmsg_rtn_b32 s0, sendmsg(MSG_RTN_GET_DOORBELL)
	s_mov_b32 ttmp2, m0
	s_waitcnt lgkmcnt(0)
	s_and_b32 s0, s0, 0x3ff
	s_delay_alu instid0(SALU_CYCLE_1) | instskip(NEXT) | instid1(SALU_CYCLE_1)
	s_bitset1_b32 s0, 10
	s_mov_b32 m0, s0
	s_sendmsg sendmsg(MSG_INTERRUPT)
	s_mov_b32 m0, ttmp2
.LBB4_1912:                             ; =>This Inner Loop Header: Depth=1
	s_sethalt 5
	s_branch .LBB4_1912
.LBB4_1913:
	s_trap 2
	s_sendmsg_rtn_b32 s0, sendmsg(MSG_RTN_GET_DOORBELL)
	s_mov_b32 ttmp2, m0
	s_waitcnt lgkmcnt(0)
	s_and_b32 s0, s0, 0x3ff
	s_delay_alu instid0(SALU_CYCLE_1) | instskip(NEXT) | instid1(SALU_CYCLE_1)
	s_bitset1_b32 s0, 10
	s_mov_b32 m0, s0
	s_sendmsg sendmsg(MSG_INTERRUPT)
	s_mov_b32 m0, ttmp2
.LBB4_1914:                             ; =>This Inner Loop Header: Depth=1
	s_sethalt 5
	s_branch .LBB4_1914
.LBB4_1915:
	s_trap 2
	s_sendmsg_rtn_b32 s0, sendmsg(MSG_RTN_GET_DOORBELL)
	s_mov_b32 ttmp2, m0
	s_waitcnt lgkmcnt(0)
	s_and_b32 s0, s0, 0x3ff
	s_delay_alu instid0(SALU_CYCLE_1) | instskip(NEXT) | instid1(SALU_CYCLE_1)
	s_bitset1_b32 s0, 10
	s_mov_b32 m0, s0
	s_sendmsg sendmsg(MSG_INTERRUPT)
	s_mov_b32 m0, ttmp2
.LBB4_1916:                             ; =>This Inner Loop Header: Depth=1
	s_sethalt 5
	s_branch .LBB4_1916
.LBB4_1917:
	s_trap 2
	s_sendmsg_rtn_b32 s0, sendmsg(MSG_RTN_GET_DOORBELL)
	s_mov_b32 ttmp2, m0
	s_waitcnt lgkmcnt(0)
	s_and_b32 s0, s0, 0x3ff
	s_delay_alu instid0(SALU_CYCLE_1) | instskip(NEXT) | instid1(SALU_CYCLE_1)
	s_bitset1_b32 s0, 10
	s_mov_b32 m0, s0
	s_sendmsg sendmsg(MSG_INTERRUPT)
	s_mov_b32 m0, ttmp2
.LBB4_1918:                             ; =>This Inner Loop Header: Depth=1
	s_sethalt 5
	s_branch .LBB4_1918
.LBB4_1919:
	s_trap 2
	s_sendmsg_rtn_b32 s0, sendmsg(MSG_RTN_GET_DOORBELL)
	s_mov_b32 ttmp2, m0
	s_waitcnt lgkmcnt(0)
	s_and_b32 s0, s0, 0x3ff
	s_delay_alu instid0(SALU_CYCLE_1) | instskip(NEXT) | instid1(SALU_CYCLE_1)
	s_bitset1_b32 s0, 10
	s_mov_b32 m0, s0
	s_sendmsg sendmsg(MSG_INTERRUPT)
	s_mov_b32 m0, ttmp2
.LBB4_1920:                             ; =>This Inner Loop Header: Depth=1
	s_sethalt 5
	s_branch .LBB4_1920
.LBB4_1921:
	s_trap 2
	s_sendmsg_rtn_b32 s0, sendmsg(MSG_RTN_GET_DOORBELL)
	s_mov_b32 ttmp2, m0
	s_waitcnt lgkmcnt(0)
	s_and_b32 s0, s0, 0x3ff
	s_delay_alu instid0(SALU_CYCLE_1) | instskip(NEXT) | instid1(SALU_CYCLE_1)
	s_bitset1_b32 s0, 10
	s_mov_b32 m0, s0
	s_sendmsg sendmsg(MSG_INTERRUPT)
	s_mov_b32 m0, ttmp2
.LBB4_1922:                             ; =>This Inner Loop Header: Depth=1
	s_sethalt 5
	s_branch .LBB4_1922
.LBB4_1923:
	s_trap 2
	s_sendmsg_rtn_b32 s0, sendmsg(MSG_RTN_GET_DOORBELL)
	s_mov_b32 ttmp2, m0
	s_waitcnt lgkmcnt(0)
	s_and_b32 s0, s0, 0x3ff
	s_delay_alu instid0(SALU_CYCLE_1) | instskip(NEXT) | instid1(SALU_CYCLE_1)
	s_bitset1_b32 s0, 10
	s_mov_b32 m0, s0
	s_sendmsg sendmsg(MSG_INTERRUPT)
	s_mov_b32 m0, ttmp2
.LBB4_1924:                             ; =>This Inner Loop Header: Depth=1
	s_sethalt 5
	s_branch .LBB4_1924
.LBB4_1925:
	s_trap 2
	s_sendmsg_rtn_b32 s0, sendmsg(MSG_RTN_GET_DOORBELL)
	s_mov_b32 ttmp2, m0
	s_waitcnt lgkmcnt(0)
	s_and_b32 s0, s0, 0x3ff
	s_delay_alu instid0(SALU_CYCLE_1) | instskip(NEXT) | instid1(SALU_CYCLE_1)
	s_bitset1_b32 s0, 10
	s_mov_b32 m0, s0
	s_sendmsg sendmsg(MSG_INTERRUPT)
	s_mov_b32 m0, ttmp2
.LBB4_1926:                             ; =>This Inner Loop Header: Depth=1
	s_sethalt 5
	s_branch .LBB4_1926
.LBB4_1927:
	s_trap 2
	s_sendmsg_rtn_b32 s0, sendmsg(MSG_RTN_GET_DOORBELL)
	s_mov_b32 ttmp2, m0
	s_waitcnt lgkmcnt(0)
	s_and_b32 s0, s0, 0x3ff
	s_delay_alu instid0(SALU_CYCLE_1) | instskip(NEXT) | instid1(SALU_CYCLE_1)
	s_bitset1_b32 s0, 10
	s_mov_b32 m0, s0
	s_sendmsg sendmsg(MSG_INTERRUPT)
	s_mov_b32 m0, ttmp2
.LBB4_1928:                             ; =>This Inner Loop Header: Depth=1
	s_sethalt 5
	s_branch .LBB4_1928
.LBB4_1929:
	s_trap 2
	s_sendmsg_rtn_b32 s0, sendmsg(MSG_RTN_GET_DOORBELL)
	s_mov_b32 ttmp2, m0
	s_waitcnt lgkmcnt(0)
	s_and_b32 s0, s0, 0x3ff
	s_delay_alu instid0(SALU_CYCLE_1) | instskip(NEXT) | instid1(SALU_CYCLE_1)
	s_bitset1_b32 s0, 10
	s_mov_b32 m0, s0
	s_sendmsg sendmsg(MSG_INTERRUPT)
	s_mov_b32 m0, ttmp2
.LBB4_1930:                             ; =>This Inner Loop Header: Depth=1
	s_sethalt 5
	s_branch .LBB4_1930
.LBB4_1931:
	s_trap 2
	s_sendmsg_rtn_b32 s0, sendmsg(MSG_RTN_GET_DOORBELL)
	s_mov_b32 ttmp2, m0
	s_waitcnt lgkmcnt(0)
	s_and_b32 s0, s0, 0x3ff
	s_delay_alu instid0(SALU_CYCLE_1) | instskip(NEXT) | instid1(SALU_CYCLE_1)
	s_bitset1_b32 s0, 10
	s_mov_b32 m0, s0
	s_sendmsg sendmsg(MSG_INTERRUPT)
	s_mov_b32 m0, ttmp2
.LBB4_1932:                             ; =>This Inner Loop Header: Depth=1
	s_sethalt 5
	s_branch .LBB4_1932
.LBB4_1933:
	s_trap 2
	s_sendmsg_rtn_b32 s0, sendmsg(MSG_RTN_GET_DOORBELL)
	s_mov_b32 ttmp2, m0
	s_waitcnt lgkmcnt(0)
	s_and_b32 s0, s0, 0x3ff
	s_delay_alu instid0(SALU_CYCLE_1) | instskip(NEXT) | instid1(SALU_CYCLE_1)
	s_bitset1_b32 s0, 10
	s_mov_b32 m0, s0
	s_sendmsg sendmsg(MSG_INTERRUPT)
	s_mov_b32 m0, ttmp2
.LBB4_1934:                             ; =>This Inner Loop Header: Depth=1
	s_sethalt 5
	s_branch .LBB4_1934
.LBB4_1935:
	s_trap 2
	s_sendmsg_rtn_b32 s0, sendmsg(MSG_RTN_GET_DOORBELL)
	s_mov_b32 ttmp2, m0
	s_waitcnt lgkmcnt(0)
	s_and_b32 s0, s0, 0x3ff
	s_delay_alu instid0(SALU_CYCLE_1) | instskip(NEXT) | instid1(SALU_CYCLE_1)
	s_bitset1_b32 s0, 10
	s_mov_b32 m0, s0
	s_sendmsg sendmsg(MSG_INTERRUPT)
	s_mov_b32 m0, ttmp2
.LBB4_1936:                             ; =>This Inner Loop Header: Depth=1
	s_sethalt 5
	s_branch .LBB4_1936
.LBB4_1937:
	s_trap 2
	s_sendmsg_rtn_b32 s0, sendmsg(MSG_RTN_GET_DOORBELL)
	s_mov_b32 ttmp2, m0
	s_waitcnt lgkmcnt(0)
	s_and_b32 s0, s0, 0x3ff
	s_delay_alu instid0(SALU_CYCLE_1) | instskip(NEXT) | instid1(SALU_CYCLE_1)
	s_bitset1_b32 s0, 10
	s_mov_b32 m0, s0
	s_sendmsg sendmsg(MSG_INTERRUPT)
	s_mov_b32 m0, ttmp2
.LBB4_1938:                             ; =>This Inner Loop Header: Depth=1
	s_sethalt 5
	s_branch .LBB4_1938
.LBB4_1939:
	s_trap 2
	s_sendmsg_rtn_b32 s0, sendmsg(MSG_RTN_GET_DOORBELL)
	s_mov_b32 ttmp2, m0
	s_waitcnt lgkmcnt(0)
	s_and_b32 s0, s0, 0x3ff
	s_delay_alu instid0(SALU_CYCLE_1) | instskip(NEXT) | instid1(SALU_CYCLE_1)
	s_bitset1_b32 s0, 10
	s_mov_b32 m0, s0
	s_sendmsg sendmsg(MSG_INTERRUPT)
	s_mov_b32 m0, ttmp2
.LBB4_1940:                             ; =>This Inner Loop Header: Depth=1
	s_sethalt 5
	s_branch .LBB4_1940
.LBB4_1941:
	s_trap 2
	s_sendmsg_rtn_b32 s0, sendmsg(MSG_RTN_GET_DOORBELL)
	s_mov_b32 ttmp2, m0
	s_waitcnt lgkmcnt(0)
	s_and_b32 s0, s0, 0x3ff
	s_delay_alu instid0(SALU_CYCLE_1) | instskip(NEXT) | instid1(SALU_CYCLE_1)
	s_bitset1_b32 s0, 10
	s_mov_b32 m0, s0
	s_sendmsg sendmsg(MSG_INTERRUPT)
	s_mov_b32 m0, ttmp2
.LBB4_1942:                             ; =>This Inner Loop Header: Depth=1
	s_sethalt 5
	s_branch .LBB4_1942
.LBB4_1943:
	s_trap 2
	s_sendmsg_rtn_b32 s0, sendmsg(MSG_RTN_GET_DOORBELL)
	s_mov_b32 ttmp2, m0
	s_waitcnt lgkmcnt(0)
	s_and_b32 s0, s0, 0x3ff
	s_delay_alu instid0(SALU_CYCLE_1) | instskip(NEXT) | instid1(SALU_CYCLE_1)
	s_bitset1_b32 s0, 10
	s_mov_b32 m0, s0
	s_sendmsg sendmsg(MSG_INTERRUPT)
	s_mov_b32 m0, ttmp2
.LBB4_1944:                             ; =>This Inner Loop Header: Depth=1
	s_sethalt 5
	s_branch .LBB4_1944
.LBB4_1945:
	s_trap 2
	s_sendmsg_rtn_b32 s0, sendmsg(MSG_RTN_GET_DOORBELL)
	s_mov_b32 ttmp2, m0
	s_waitcnt lgkmcnt(0)
	s_and_b32 s0, s0, 0x3ff
	s_delay_alu instid0(SALU_CYCLE_1) | instskip(NEXT) | instid1(SALU_CYCLE_1)
	s_bitset1_b32 s0, 10
	s_mov_b32 m0, s0
	s_sendmsg sendmsg(MSG_INTERRUPT)
	s_mov_b32 m0, ttmp2
.LBB4_1946:                             ; =>This Inner Loop Header: Depth=1
	s_sethalt 5
	s_branch .LBB4_1946
.LBB4_1947:
	s_trap 2
	s_sendmsg_rtn_b32 s0, sendmsg(MSG_RTN_GET_DOORBELL)
	s_mov_b32 ttmp2, m0
	s_waitcnt lgkmcnt(0)
	s_and_b32 s0, s0, 0x3ff
	s_delay_alu instid0(SALU_CYCLE_1) | instskip(NEXT) | instid1(SALU_CYCLE_1)
	s_bitset1_b32 s0, 10
	s_mov_b32 m0, s0
	s_sendmsg sendmsg(MSG_INTERRUPT)
	s_mov_b32 m0, ttmp2
.LBB4_1948:                             ; =>This Inner Loop Header: Depth=1
	s_sethalt 5
	s_branch .LBB4_1948
.LBB4_1949:
	s_trap 2
	s_sendmsg_rtn_b32 s0, sendmsg(MSG_RTN_GET_DOORBELL)
	s_mov_b32 ttmp2, m0
	s_waitcnt lgkmcnt(0)
	s_and_b32 s0, s0, 0x3ff
	s_delay_alu instid0(SALU_CYCLE_1) | instskip(NEXT) | instid1(SALU_CYCLE_1)
	s_bitset1_b32 s0, 10
	s_mov_b32 m0, s0
	s_sendmsg sendmsg(MSG_INTERRUPT)
	s_mov_b32 m0, ttmp2
.LBB4_1950:                             ; =>This Inner Loop Header: Depth=1
	s_sethalt 5
	s_branch .LBB4_1950
.LBB4_1951:
	s_trap 2
	s_sendmsg_rtn_b32 s0, sendmsg(MSG_RTN_GET_DOORBELL)
	s_mov_b32 ttmp2, m0
	s_waitcnt lgkmcnt(0)
	s_and_b32 s0, s0, 0x3ff
	s_delay_alu instid0(SALU_CYCLE_1) | instskip(NEXT) | instid1(SALU_CYCLE_1)
	s_bitset1_b32 s0, 10
	s_mov_b32 m0, s0
	s_sendmsg sendmsg(MSG_INTERRUPT)
	s_mov_b32 m0, ttmp2
.LBB4_1952:                             ; =>This Inner Loop Header: Depth=1
	s_sethalt 5
	s_branch .LBB4_1952
.LBB4_1953:
	s_trap 2
	s_sendmsg_rtn_b32 s0, sendmsg(MSG_RTN_GET_DOORBELL)
	s_mov_b32 ttmp2, m0
	s_waitcnt lgkmcnt(0)
	s_and_b32 s0, s0, 0x3ff
	s_delay_alu instid0(SALU_CYCLE_1) | instskip(NEXT) | instid1(SALU_CYCLE_1)
	s_bitset1_b32 s0, 10
	s_mov_b32 m0, s0
	s_sendmsg sendmsg(MSG_INTERRUPT)
	s_mov_b32 m0, ttmp2
.LBB4_1954:                             ; =>This Inner Loop Header: Depth=1
	s_sethalt 5
	s_branch .LBB4_1954
.LBB4_1955:
	s_trap 2
	s_sendmsg_rtn_b32 s0, sendmsg(MSG_RTN_GET_DOORBELL)
	s_mov_b32 ttmp2, m0
	s_waitcnt lgkmcnt(0)
	s_and_b32 s0, s0, 0x3ff
	s_delay_alu instid0(SALU_CYCLE_1) | instskip(NEXT) | instid1(SALU_CYCLE_1)
	s_bitset1_b32 s0, 10
	s_mov_b32 m0, s0
	s_sendmsg sendmsg(MSG_INTERRUPT)
	s_mov_b32 m0, ttmp2
.LBB4_1956:                             ; =>This Inner Loop Header: Depth=1
	s_sethalt 5
	s_branch .LBB4_1956
.LBB4_1957:
	s_trap 2
	s_sendmsg_rtn_b32 s0, sendmsg(MSG_RTN_GET_DOORBELL)
	s_mov_b32 ttmp2, m0
	s_waitcnt lgkmcnt(0)
	s_and_b32 s0, s0, 0x3ff
	s_delay_alu instid0(SALU_CYCLE_1) | instskip(NEXT) | instid1(SALU_CYCLE_1)
	s_bitset1_b32 s0, 10
	s_mov_b32 m0, s0
	s_sendmsg sendmsg(MSG_INTERRUPT)
	s_mov_b32 m0, ttmp2
.LBB4_1958:                             ; =>This Inner Loop Header: Depth=1
	s_sethalt 5
	s_branch .LBB4_1958
.LBB4_1959:
	s_trap 2
	s_sendmsg_rtn_b32 s0, sendmsg(MSG_RTN_GET_DOORBELL)
	s_mov_b32 ttmp2, m0
	s_waitcnt lgkmcnt(0)
	s_and_b32 s0, s0, 0x3ff
	s_delay_alu instid0(SALU_CYCLE_1) | instskip(NEXT) | instid1(SALU_CYCLE_1)
	s_bitset1_b32 s0, 10
	s_mov_b32 m0, s0
	s_sendmsg sendmsg(MSG_INTERRUPT)
	s_mov_b32 m0, ttmp2
.LBB4_1960:                             ; =>This Inner Loop Header: Depth=1
	s_sethalt 5
	s_branch .LBB4_1960
.LBB4_1961:
	s_trap 2
	s_sendmsg_rtn_b32 s0, sendmsg(MSG_RTN_GET_DOORBELL)
	s_mov_b32 ttmp2, m0
	s_waitcnt lgkmcnt(0)
	s_and_b32 s0, s0, 0x3ff
	s_delay_alu instid0(SALU_CYCLE_1) | instskip(NEXT) | instid1(SALU_CYCLE_1)
	s_bitset1_b32 s0, 10
	s_mov_b32 m0, s0
	s_sendmsg sendmsg(MSG_INTERRUPT)
	s_mov_b32 m0, ttmp2
.LBB4_1962:                             ; =>This Inner Loop Header: Depth=1
	s_sethalt 5
	s_branch .LBB4_1962
.LBB4_1963:
	s_trap 2
	s_sendmsg_rtn_b32 s0, sendmsg(MSG_RTN_GET_DOORBELL)
	s_mov_b32 ttmp2, m0
	s_waitcnt lgkmcnt(0)
	s_and_b32 s0, s0, 0x3ff
	s_delay_alu instid0(SALU_CYCLE_1) | instskip(NEXT) | instid1(SALU_CYCLE_1)
	s_bitset1_b32 s0, 10
	s_mov_b32 m0, s0
	s_sendmsg sendmsg(MSG_INTERRUPT)
	s_mov_b32 m0, ttmp2
.LBB4_1964:                             ; =>This Inner Loop Header: Depth=1
	s_sethalt 5
	s_branch .LBB4_1964
.LBB4_1965:
	s_trap 2
	s_sendmsg_rtn_b32 s0, sendmsg(MSG_RTN_GET_DOORBELL)
	s_mov_b32 ttmp2, m0
	s_waitcnt lgkmcnt(0)
	s_and_b32 s0, s0, 0x3ff
	s_delay_alu instid0(SALU_CYCLE_1) | instskip(NEXT) | instid1(SALU_CYCLE_1)
	s_bitset1_b32 s0, 10
	s_mov_b32 m0, s0
	s_sendmsg sendmsg(MSG_INTERRUPT)
	s_mov_b32 m0, ttmp2
.LBB4_1966:                             ; =>This Inner Loop Header: Depth=1
	s_sethalt 5
	s_branch .LBB4_1966
.LBB4_1967:
	s_trap 2
	s_sendmsg_rtn_b32 s0, sendmsg(MSG_RTN_GET_DOORBELL)
	s_mov_b32 ttmp2, m0
	s_waitcnt lgkmcnt(0)
	s_and_b32 s0, s0, 0x3ff
	s_delay_alu instid0(SALU_CYCLE_1) | instskip(NEXT) | instid1(SALU_CYCLE_1)
	s_bitset1_b32 s0, 10
	s_mov_b32 m0, s0
	s_sendmsg sendmsg(MSG_INTERRUPT)
	s_mov_b32 m0, ttmp2
.LBB4_1968:                             ; =>This Inner Loop Header: Depth=1
	s_sethalt 5
	s_branch .LBB4_1968
.LBB4_1969:
	s_trap 2
	s_sendmsg_rtn_b32 s0, sendmsg(MSG_RTN_GET_DOORBELL)
	s_mov_b32 ttmp2, m0
	s_waitcnt lgkmcnt(0)
	s_and_b32 s0, s0, 0x3ff
	s_delay_alu instid0(SALU_CYCLE_1) | instskip(NEXT) | instid1(SALU_CYCLE_1)
	s_bitset1_b32 s0, 10
	s_mov_b32 m0, s0
	s_sendmsg sendmsg(MSG_INTERRUPT)
	s_mov_b32 m0, ttmp2
.LBB4_1970:                             ; =>This Inner Loop Header: Depth=1
	s_sethalt 5
	s_branch .LBB4_1970
.LBB4_1971:
	s_trap 2
	s_sendmsg_rtn_b32 s0, sendmsg(MSG_RTN_GET_DOORBELL)
	s_mov_b32 ttmp2, m0
	s_waitcnt lgkmcnt(0)
	s_and_b32 s0, s0, 0x3ff
	s_delay_alu instid0(SALU_CYCLE_1) | instskip(NEXT) | instid1(SALU_CYCLE_1)
	s_bitset1_b32 s0, 10
	s_mov_b32 m0, s0
	s_sendmsg sendmsg(MSG_INTERRUPT)
	s_mov_b32 m0, ttmp2
.LBB4_1972:                             ; =>This Inner Loop Header: Depth=1
	s_sethalt 5
	s_branch .LBB4_1972
.LBB4_1973:
	s_trap 2
	s_sendmsg_rtn_b32 s0, sendmsg(MSG_RTN_GET_DOORBELL)
	s_mov_b32 ttmp2, m0
	s_waitcnt lgkmcnt(0)
	s_and_b32 s0, s0, 0x3ff
	s_delay_alu instid0(SALU_CYCLE_1) | instskip(NEXT) | instid1(SALU_CYCLE_1)
	s_bitset1_b32 s0, 10
	s_mov_b32 m0, s0
	s_sendmsg sendmsg(MSG_INTERRUPT)
	s_mov_b32 m0, ttmp2
.LBB4_1974:                             ; =>This Inner Loop Header: Depth=1
	s_sethalt 5
	s_branch .LBB4_1974
.LBB4_1975:
	s_trap 2
	s_sendmsg_rtn_b32 s0, sendmsg(MSG_RTN_GET_DOORBELL)
	s_mov_b32 ttmp2, m0
	s_waitcnt lgkmcnt(0)
	s_and_b32 s0, s0, 0x3ff
	s_delay_alu instid0(SALU_CYCLE_1) | instskip(NEXT) | instid1(SALU_CYCLE_1)
	s_bitset1_b32 s0, 10
	s_mov_b32 m0, s0
	s_sendmsg sendmsg(MSG_INTERRUPT)
	s_mov_b32 m0, ttmp2
.LBB4_1976:                             ; =>This Inner Loop Header: Depth=1
	s_sethalt 5
	s_branch .LBB4_1976
.LBB4_1977:
	s_trap 2
	s_sendmsg_rtn_b32 s0, sendmsg(MSG_RTN_GET_DOORBELL)
	s_mov_b32 ttmp2, m0
	s_waitcnt lgkmcnt(0)
	s_and_b32 s0, s0, 0x3ff
	s_delay_alu instid0(SALU_CYCLE_1) | instskip(NEXT) | instid1(SALU_CYCLE_1)
	s_bitset1_b32 s0, 10
	s_mov_b32 m0, s0
	s_sendmsg sendmsg(MSG_INTERRUPT)
	s_mov_b32 m0, ttmp2
.LBB4_1978:                             ; =>This Inner Loop Header: Depth=1
	s_sethalt 5
	s_branch .LBB4_1978
.LBB4_1979:
	s_trap 2
	s_sendmsg_rtn_b32 s0, sendmsg(MSG_RTN_GET_DOORBELL)
	s_mov_b32 ttmp2, m0
	s_waitcnt lgkmcnt(0)
	s_and_b32 s0, s0, 0x3ff
	s_delay_alu instid0(SALU_CYCLE_1) | instskip(NEXT) | instid1(SALU_CYCLE_1)
	s_bitset1_b32 s0, 10
	s_mov_b32 m0, s0
	s_sendmsg sendmsg(MSG_INTERRUPT)
	s_mov_b32 m0, ttmp2
.LBB4_1980:                             ; =>This Inner Loop Header: Depth=1
	s_sethalt 5
	s_branch .LBB4_1980
.LBB4_1981:
	s_trap 2
	s_sendmsg_rtn_b32 s0, sendmsg(MSG_RTN_GET_DOORBELL)
	s_mov_b32 ttmp2, m0
	s_waitcnt lgkmcnt(0)
	s_and_b32 s0, s0, 0x3ff
	s_delay_alu instid0(SALU_CYCLE_1) | instskip(NEXT) | instid1(SALU_CYCLE_1)
	s_bitset1_b32 s0, 10
	s_mov_b32 m0, s0
	s_sendmsg sendmsg(MSG_INTERRUPT)
	s_mov_b32 m0, ttmp2
.LBB4_1982:                             ; =>This Inner Loop Header: Depth=1
	s_sethalt 5
	s_branch .LBB4_1982
.LBB4_1983:
	s_trap 2
	s_sendmsg_rtn_b32 s0, sendmsg(MSG_RTN_GET_DOORBELL)
	s_mov_b32 ttmp2, m0
	s_waitcnt lgkmcnt(0)
	s_and_b32 s0, s0, 0x3ff
	s_delay_alu instid0(SALU_CYCLE_1) | instskip(NEXT) | instid1(SALU_CYCLE_1)
	s_bitset1_b32 s0, 10
	s_mov_b32 m0, s0
	s_sendmsg sendmsg(MSG_INTERRUPT)
	s_mov_b32 m0, ttmp2
.LBB4_1984:                             ; =>This Inner Loop Header: Depth=1
	s_sethalt 5
	s_branch .LBB4_1984
.Lfunc_end4:
	.size	_ZN12_GLOBAL__N_17runRingIm14FuncSumPostDivImE11ProtoSimpleILi2ELi2ELi0ELi2ELi0ELi0EELi0ELi0ELi2ELi0EEEviiP15ncclDevWorkColl, .Lfunc_end4-_ZN12_GLOBAL__N_17runRingIm14FuncSumPostDivImE11ProtoSimpleILi2ELi2ELi0ELi2ELi0ELi0EELi0ELi0ELi2ELi0EEEviiP15ncclDevWorkColl
                                        ; -- End function
	.section	.AMDGPU.csdata,"",@progbits
; Function info:
; codeLenInByte = 88792
; NumSgprs: 48
; NumVgprs: 180
; ScratchSize: 80
; MemoryBound: 1
	.text
	.p2align	2                               ; -- Begin function _Z54ncclDevFunc_AllReduce_RING_SIMPLE_SumPostDiv_u64_0_0_2v
	.type	_Z54ncclDevFunc_AllReduce_RING_SIMPLE_SumPostDiv_u64_0_0_2v,@function
_Z54ncclDevFunc_AllReduce_RING_SIMPLE_SumPostDiv_u64_0_0_2v: ; @_Z54ncclDevFunc_AllReduce_RING_SIMPLE_SumPostDiv_u64_0_0_2v
; %bb.0:
	s_waitcnt vmcnt(0) expcnt(0) lgkmcnt(0)
	s_mov_b32 s0, s33
	s_mov_b32 s33, s32
	s_or_saveexec_b32 s1, -1
	scratch_store_b32 off, v40, s33 offset:8 ; 4-byte Folded Spill
	s_mov_b32 exec_lo, s1
	v_writelane_b32 v40, s0, 20
	s_add_i32 s32, s32, 16
	s_clause 0x1
	scratch_store_b32 off, v41, s33 offset:4
	; meta instruction
	scratch_store_b32 off, v42, s33
	v_writelane_b32 v40, s34, 0
	v_writelane_b32 v40, s35, 1
	;; [unrolled: 1-line block ×20, first 2 shown]
	s_cbranch_execnz .LBB5_7
; %bb.1:
	ds_load_b32 v0, v0
	v_and_b32_e32 v180, 0x3ff, v31
	s_mov_b32 s0, exec_lo
	s_waitcnt lgkmcnt(0)
	s_delay_alu instid0(VALU_DEP_1)
	v_cmpx_lt_i32_e64 v180, v0
	s_cbranch_execz .LBB5_9
; %bb.2:
	s_load_b32 s1, s[8:9], 0x0
	v_mov_b32_e32 v1, 0
	s_waitcnt lgkmcnt(0)
	s_cmp_lt_u32 s12, s1
	s_cselect_b32 s1, 12, 18
	s_delay_alu instid0(SALU_CYCLE_1)
	s_add_u32 s2, s8, s1
	s_addc_u32 s3, s9, 0
	s_mov_b32 s1, 0
	global_load_u16 v1, v1, s[2:3]
	s_cbranch_execnz .LBB5_24
; %bb.3:
	ds_load_b32 v2, v0
	v_mov_b32_e32 v3, v180
                                        ; implicit-def: $vgpr4
	s_waitcnt vmcnt(0) lgkmcnt(0)
	v_mul_lo_u32 v2, v2, v1
	s_branch .LBB5_5
	.p2align	6
.LBB5_4:                                ;   in Loop: Header=BB5_5 Depth=1
	s_or_b32 exec_lo, exec_lo, s2
	v_add_nc_u32_e32 v3, v3, v1
	v_add_nc_u32_e32 v4, v4, v2
	s_delay_alu instid0(VALU_DEP_2) | instskip(SKIP_1) | instid1(SALU_CYCLE_1)
	v_cmp_ge_i32_e32 vcc_lo, v3, v0
	s_or_b32 s1, vcc_lo, s1
	s_and_not1_b32 exec_lo, exec_lo, s1
	s_cbranch_execz .LBB5_9
.LBB5_5:                                ; =>This Inner Loop Header: Depth=1
	ds_load_b32 v5, v4
	s_mov_b32 s2, exec_lo
	s_waitcnt lgkmcnt(0)
	v_and_b32_e32 v5, 0x1000000, v5
	s_delay_alu instid0(VALU_DEP_1)
	v_cmpx_ne_u32_e32 0, v5
	s_cbranch_execz .LBB5_4
; %bb.6:                                ;   in Loop: Header=BB5_5 Depth=1
	ds_load_b64 v[5:6], v4 offset:104
	s_waitcnt lgkmcnt(0)
	flat_load_b64 v[5:6], v[5:6]
	s_waitcnt vmcnt(0) lgkmcnt(0)
	ds_store_b64 v4, v[5:6] offset:104
	s_branch .LBB5_4
.LBB5_7:
	s_trap 2
	s_sendmsg_rtn_b32 s0, sendmsg(MSG_RTN_GET_DOORBELL)
	s_mov_b32 ttmp2, m0
	s_waitcnt lgkmcnt(0)
	s_and_b32 s0, s0, 0x3ff
	s_delay_alu instid0(SALU_CYCLE_1) | instskip(NEXT) | instid1(SALU_CYCLE_1)
	s_bitset1_b32 s0, 10
	s_mov_b32 m0, s0
	s_sendmsg sendmsg(MSG_INTERRUPT)
	s_mov_b32 m0, ttmp2
.LBB5_8:                                ; =>This Inner Loop Header: Depth=1
	s_sethalt 5
	s_branch .LBB5_8
.LBB5_9:
	s_or_b32 exec_lo, exec_lo, s0
	s_waitcnt lgkmcnt(0)
	s_waitcnt_vscnt null, 0x0
	s_barrier
	buffer_gl0_inv
	s_cbranch_execnz .LBB5_22
; %bb.10:
	ds_load_b32 v0, v0
	s_waitcnt lgkmcnt(0)
	v_cmp_gt_i32_e32 vcc_lo, 1, v0
	s_cbranch_vccnz .LBB5_21
; %bb.11:
	s_mov_b32 s50, 0
	s_mov_b64 s[48:49], src_shared_base
.LBB5_12:                               ; =>This Inner Loop Header: Depth=1
	s_cbranch_execnz .LBB5_26
; %bb.13:                               ;   in Loop: Header=BB5_12 Depth=1
	ds_load_b32 v0, v0
	s_cmp_eq_u32 s50, 0
	s_cbranch_scc1 .LBB5_17
; %bb.14:                               ;   in Loop: Header=BB5_12 Depth=1
	s_cbranch_execnz .LBB5_30
; %bb.15:                               ;   in Loop: Header=BB5_12 Depth=1
	s_waitcnt lgkmcnt(0)
	ds_load_b32 v1, v0
	s_waitcnt lgkmcnt(0)
	v_xor_b32_e32 v1, v1, v0
	s_delay_alu instid0(VALU_DEP_1) | instskip(NEXT) | instid1(VALU_DEP_1)
	v_and_b32_e32 v1, 0xff0000, v1
	v_cmp_eq_u32_e32 vcc_lo, 0, v1
	s_cbranch_vccnz .LBB5_17
; %bb.16:                               ;   in Loop: Header=BB5_12 Depth=1
	s_waitcnt_vscnt null, 0x0
	s_barrier
	buffer_gl0_inv
	ds_load_b32 v0, v0
.LBB5_17:                               ;   in Loop: Header=BB5_12 Depth=1
	s_waitcnt lgkmcnt(0)
	v_lshrrev_b32_e32 v0, 11, v0
	s_mov_b32 s51, exec_lo
	s_delay_alu instid0(VALU_DEP_1) | instskip(NEXT) | instid1(VALU_DEP_1)
	v_and_b32_e32 v1, 0x1fe0, v0
	v_cmpx_lt_u32_e64 v180, v1
	s_cbranch_execz .LBB5_19
; %bb.18:                               ;   in Loop: Header=BB5_12 Depth=1
	v_dual_mov_b32 v181, v31 :: v_dual_mov_b32 v0, v180
	v_mov_b32_e32 v3, s49
	s_getpc_b64 s[0:1]
	s_add_u32 s0, s0, _ZN12_GLOBAL__N_17runRingIm14FuncSumPostDivImE11ProtoSimpleILi2ELi2ELi0ELi2ELi0ELi0EELi0ELi0ELi2ELi0EEEviiP15ncclDevWorkColl@rel32@lo+4
	s_addc_u32 s1, s1, _ZN12_GLOBAL__N_17runRingIm14FuncSumPostDivImE11ProtoSimpleILi2ELi2ELi0ELi2ELi0ELi0EELi0ELi0ELi2ELi0EEEviiP15ncclDevWorkColl@rel32@hi+12
	s_mov_b64 s[46:47], s[8:9]
	s_mov_b32 s48, s12
	s_swappc_b64 s[30:31], s[0:1]
	v_mov_b32_e32 v31, v181
	s_mov_b32 s12, s48
	s_mov_b64 s[8:9], s[46:47]
.LBB5_19:                               ;   in Loop: Header=BB5_12 Depth=1
	s_or_b32 exec_lo, exec_lo, s51
	s_cbranch_execnz .LBB5_28
; %bb.20:                               ;   in Loop: Header=BB5_12 Depth=1
	ds_load_b32 v0, v0
	s_add_i32 s50, s50, 1
	s_waitcnt lgkmcnt(0)
	v_cmp_lt_i32_e32 vcc_lo, s50, v0
	s_cbranch_vccnz .LBB5_12
.LBB5_21:
	s_clause 0x1
	scratch_load_b32 v42, off, s33
	scratch_load_b32 v41, off, s33 offset:4
	v_readlane_b32 s30, v40, 18
	v_readlane_b32 s31, v40, 19
	;; [unrolled: 1-line block ×21, first 2 shown]
	s_or_saveexec_b32 s1, -1
	scratch_load_b32 v40, off, s33 offset:8 ; 4-byte Folded Reload
	s_mov_b32 exec_lo, s1
	s_add_i32 s32, s32, -16
	s_mov_b32 s33, s0
	s_waitcnt vmcnt(0)
	s_setpc_b64 s[30:31]
.LBB5_22:
	s_trap 2
	s_sendmsg_rtn_b32 s0, sendmsg(MSG_RTN_GET_DOORBELL)
	s_mov_b32 ttmp2, m0
	s_waitcnt lgkmcnt(0)
	s_and_b32 s0, s0, 0x3ff
	s_delay_alu instid0(SALU_CYCLE_1) | instskip(NEXT) | instid1(SALU_CYCLE_1)
	s_bitset1_b32 s0, 10
	s_mov_b32 m0, s0
	s_sendmsg sendmsg(MSG_INTERRUPT)
	s_mov_b32 m0, ttmp2
.LBB5_23:                               ; =>This Inner Loop Header: Depth=1
	s_sethalt 5
	s_branch .LBB5_23
.LBB5_24:
	s_trap 2
	s_sendmsg_rtn_b32 s0, sendmsg(MSG_RTN_GET_DOORBELL)
	s_mov_b32 ttmp2, m0
	s_waitcnt lgkmcnt(0)
	s_and_b32 s0, s0, 0x3ff
	s_delay_alu instid0(SALU_CYCLE_1) | instskip(NEXT) | instid1(SALU_CYCLE_1)
	s_bitset1_b32 s0, 10
	s_mov_b32 m0, s0
	s_sendmsg sendmsg(MSG_INTERRUPT)
	s_mov_b32 m0, ttmp2
.LBB5_25:                               ; =>This Inner Loop Header: Depth=1
	s_sethalt 5
	s_branch .LBB5_25
.LBB5_26:
	s_trap 2
	s_sendmsg_rtn_b32 s0, sendmsg(MSG_RTN_GET_DOORBELL)
	s_mov_b32 ttmp2, m0
	s_waitcnt lgkmcnt(0)
	s_and_b32 s0, s0, 0x3ff
	s_delay_alu instid0(SALU_CYCLE_1) | instskip(NEXT) | instid1(SALU_CYCLE_1)
	s_bitset1_b32 s0, 10
	s_mov_b32 m0, s0
	s_sendmsg sendmsg(MSG_INTERRUPT)
	s_mov_b32 m0, ttmp2
.LBB5_27:                               ; =>This Inner Loop Header: Depth=1
	s_sethalt 5
	s_branch .LBB5_27
.LBB5_28:
	s_trap 2
	s_sendmsg_rtn_b32 s0, sendmsg(MSG_RTN_GET_DOORBELL)
	s_mov_b32 ttmp2, m0
	s_waitcnt lgkmcnt(0)
	s_and_b32 s0, s0, 0x3ff
	s_delay_alu instid0(SALU_CYCLE_1) | instskip(NEXT) | instid1(SALU_CYCLE_1)
	s_bitset1_b32 s0, 10
	s_mov_b32 m0, s0
	s_sendmsg sendmsg(MSG_INTERRUPT)
	s_mov_b32 m0, ttmp2
.LBB5_29:                               ; =>This Inner Loop Header: Depth=1
	s_sethalt 5
	s_branch .LBB5_29
.LBB5_30:
	s_trap 2
	s_sendmsg_rtn_b32 s0, sendmsg(MSG_RTN_GET_DOORBELL)
	s_mov_b32 ttmp2, m0
	s_waitcnt lgkmcnt(0)
	s_and_b32 s0, s0, 0x3ff
	s_delay_alu instid0(SALU_CYCLE_1) | instskip(NEXT) | instid1(SALU_CYCLE_1)
	s_bitset1_b32 s0, 10
	s_mov_b32 m0, s0
	s_sendmsg sendmsg(MSG_INTERRUPT)
	s_mov_b32 m0, ttmp2
.LBB5_31:                               ; =>This Inner Loop Header: Depth=1
	s_sethalt 5
	s_branch .LBB5_31
.Lfunc_end5:
	.size	_Z54ncclDevFunc_AllReduce_RING_SIMPLE_SumPostDiv_u64_0_0_2v, .Lfunc_end5-_Z54ncclDevFunc_AllReduce_RING_SIMPLE_SumPostDiv_u64_0_0_2v
                                        ; -- End function
	.section	.AMDGPU.csdata,"",@progbits
; Function info:
; codeLenInByte = 1248
; NumSgprs: 54
; NumVgprs: 182
; ScratchSize: 96
; MemoryBound: 0
	.text
	.p2align	2                               ; -- Begin function _ZN12_GLOBAL__N_17runRingIm14FuncSumPostDivImE11ProtoSimpleILi2ELi2ELi0ELi4ELi0ELi0EELi0ELi0ELi4ELi0EEEviiP15ncclDevWorkColl
	.type	_ZN12_GLOBAL__N_17runRingIm14FuncSumPostDivImE11ProtoSimpleILi2ELi2ELi0ELi4ELi0ELi0EELi0ELi0ELi4ELi0EEEviiP15ncclDevWorkColl,@function
_ZN12_GLOBAL__N_17runRingIm14FuncSumPostDivImE11ProtoSimpleILi2ELi2ELi0ELi4ELi0ELi0EELi0ELi0ELi4ELi0EEEviiP15ncclDevWorkColl: ; @_ZN12_GLOBAL__N_17runRingIm14FuncSumPostDivImE11ProtoSimpleILi2ELi2ELi0ELi4ELi0ELi0EELi0ELi0ELi4ELi0EEEviiP15ncclDevWorkColl
; %bb.0:
	s_waitcnt vmcnt(0) expcnt(0) lgkmcnt(0)
	s_mov_b32 s0, s33
	s_mov_b32 s33, s32
	s_or_saveexec_b32 s1, -1
	s_clause 0x1
	scratch_store_b32 off, v73, s33 offset:68
	; meta instruction
	scratch_store_b32 off, v74, s33 offset:72
	s_mov_b32 exec_lo, s1
	v_writelane_b32 v73, s0, 15
	s_addk_i32 s32, 0x50
	s_clause 0x10
	scratch_store_b32 off, v40, s33 offset:64
	; meta instruction
	scratch_store_b32 off, v41, s33 offset:60
	; meta instruction
	;; [unrolled: 2-line block ×16, first 2 shown]
	scratch_store_b32 off, v72, s33
	v_writelane_b32 v73, s34, 0
	v_writelane_b32 v73, s35, 1
	;; [unrolled: 1-line block ×15, first 2 shown]
	s_cbranch_execnz .LBB6_1452
; %bb.1:
	flat_load_b32 v7, v[2:3]
	ds_load_b32 v6, v0
	s_mov_b32 s0, exec_lo
                                        ; implicit-def: $vgpr14_vgpr15
                                        ; implicit-def: $vgpr28_vgpr29
                                        ; implicit-def: $vgpr4_vgpr5
	s_waitcnt lgkmcnt(0)
	v_readfirstlane_b32 s27, v6
	s_waitcnt vmcnt(0)
	v_and_b32_e32 v8, 0xff, v7
	s_delay_alu instid0(VALU_DEP_1)
	v_cmpx_ne_u32_e64 v8, v6
	s_xor_b32 s0, exec_lo, s0
	s_cbranch_execz .LBB6_1454
; %bb.2:
	v_bfe_u32 v9, v7, 8, 8
	v_not_b32_e32 v8, v8
	s_mov_b32 s1, exec_lo
                                        ; implicit-def: $vgpr14_vgpr15
                                        ; implicit-def: $vgpr28_vgpr29
                                        ; implicit-def: $vgpr4_vgpr5
	s_delay_alu instid0(VALU_DEP_2)
	v_cmpx_ne_u32_e64 v9, v6
	s_xor_b32 s1, exec_lo, s1
	s_cbranch_execz .LBB6_4
; %bb.3:
	s_clause 0x1
	flat_load_b128 v[9:12], v[2:3] offset:72
	flat_load_b64 v[4:5], v[2:3] offset:96
	v_add_nc_u32_e32 v6, v6, v8
                                        ; implicit-def: $vgpr8
	s_waitcnt vmcnt(0) lgkmcnt(0)
	v_lshrrev_b64 v[14:15], 15, v[4:5]
	v_dual_mov_b32 v4, v11 :: v_dual_mov_b32 v5, v12
	s_delay_alu instid0(VALU_DEP_3) | instskip(SKIP_2) | instid1(VALU_DEP_3)
	v_ashrrev_i32_e32 v7, 31, v6
	v_mad_u64_u32 v[28:29], null, v11, v6, v[9:10]
	v_mul_lo_u32 v6, v12, v6
                                        ; implicit-def: $vgpr9
	v_mul_lo_u32 v7, v11, v7
	s_delay_alu instid0(VALU_DEP_1)
	v_add3_u32 v29, v6, v29, v7
.LBB6_4:
	s_and_not1_saveexec_b32 s1, s1
	s_cbranch_execz .LBB6_6
; %bb.5:
	s_clause 0x1
	flat_load_b128 v[10:13], v[2:3] offset:72
	flat_load_b128 v[4:7], v[2:3] offset:88
	s_waitcnt vmcnt(0) lgkmcnt(0)
	v_add_nc_u32_e32 v6, v9, v8
	s_delay_alu instid0(VALU_DEP_1) | instskip(NEXT) | instid1(VALU_DEP_1)
	v_ashrrev_i32_e32 v8, 31, v6
	v_mul_lo_u32 v8, v12, v8
	v_mad_u64_u32 v[28:29], null, v12, v6, v[10:11]
	v_mul_lo_u32 v6, v13, v6
	v_lshrrev_b32_e32 v14, 4, v7
	s_delay_alu instid0(VALU_DEP_2)
	v_add3_u32 v29, v6, v29, v8
.LBB6_6:
	s_or_b32 exec_lo, exec_lo, s1
	s_and_not1_saveexec_b32 s0, s0
	s_cbranch_execnz .LBB6_1455
.LBB6_7:
	s_or_b32 exec_lo, exec_lo, s0
	s_cbranch_execnz .LBB6_1456
.LBB6_8:
	ds_load_b64 v[6:7], v0
	s_mov_b32 s1, exec_lo
	s_waitcnt lgkmcnt(0)
	v_cmp_ne_u32_e32 vcc_lo, -1, v6
	v_cndmask_b32_e64 v17, 0, 1, vcc_lo
	v_cmp_ne_u32_e32 vcc_lo, -1, v7
	s_delay_alu instid0(VALU_DEP_2) | instskip(NEXT) | instid1(VALU_DEP_1)
	v_add_co_ci_u32_e64 v8, s0, 0, v17, vcc_lo
	v_lshlrev_b32_e32 v6, 1, v8
	s_delay_alu instid0(VALU_DEP_1)
	v_cmpx_le_i32_e64 v6, v1
	s_xor_b32 s26, exec_lo, s1
	s_cbranch_execz .LBB6_1699
; %bb.9:
	s_clause 0x3
	flat_load_b64 v[15:16], v[2:3] offset:104
	flat_load_b128 v[10:13], v[2:3] offset:16
	flat_load_u16 v7, v[2:3] offset:8
	flat_load_b32 v6, v[2:3] offset:4
	s_cbranch_execnz .LBB6_1458
; %bb.10:
	s_load_b32 s0, s[8:9], 0x0
	v_dual_mov_b32 v9, 0 :: v_dual_mov_b32 v30, 4
	s_waitcnt lgkmcnt(0)
	s_cmp_lt_u32 s12, s0
	s_cselect_b32 s0, 12, 18
	s_delay_alu instid0(SALU_CYCLE_1)
	s_add_u32 s0, s8, s0
	s_addc_u32 s1, s9, 0
	global_load_u16 v18, v9, s[0:1]
	ds_load_b32 v9, v0
	s_mov_b32 s1, exec_lo
	s_waitcnt lgkmcnt(0)
	v_readfirstlane_b32 s2, v9
	v_cmpx_ge_i32_e64 v0, v17
	s_cbranch_execz .LBB6_20
; %bb.11:
	v_cmp_le_u32_e64 s0, v8, v0
                                        ; implicit-def: $vgpr30
	s_delay_alu instid0(VALU_DEP_1) | instskip(NEXT) | instid1(SALU_CYCLE_1)
	s_and_saveexec_b32 s3, s0
	s_xor_b32 s0, exec_lo, s3
	s_cbranch_execz .LBB6_17
; %bb.12:
	v_cndmask_b32_e64 v9, 0, 1, vcc_lo
	s_mov_b32 s3, exec_lo
                                        ; implicit-def: $sgpr4
	s_delay_alu instid0(VALU_DEP_1) | instskip(NEXT) | instid1(VALU_DEP_1)
	v_sub_nc_u32_e32 v9, v1, v9
	v_cmpx_ge_u32_e64 v0, v9
	s_xor_b32 s3, exec_lo, s3
; %bb.13:
	s_mov_b32 s4, 16
                                        ; implicit-def: $vgpr8
; %bb.14:
	s_or_saveexec_b32 s3, s3
	v_mov_b32_e32 v30, s4
	s_xor_b32 exec_lo, exec_lo, s3
; %bb.15:
	v_sub_nc_u32_e32 v8, v1, v8
	s_delay_alu instid0(VALU_DEP_1) | instskip(SKIP_1) | instid1(VALU_DEP_1)
	v_cmp_ge_i32_e32 vcc_lo, v0, v8
	v_cndmask_b32_e64 v8, 0, 1, vcc_lo
	v_lshlrev_b32_e32 v30, 5, v8
; %bb.16:
	s_or_b32 exec_lo, exec_lo, s3
.LBB6_17:
	s_and_not1_saveexec_b32 s0, s0
; %bb.18:
	v_mov_b32_e32 v30, 8
; %bb.19:
	s_or_b32 exec_lo, exec_lo, s0
.LBB6_20:
	s_delay_alu instid0(SALU_CYCLE_1) | instskip(NEXT) | instid1(VALU_DEP_1)
	s_or_b32 exec_lo, exec_lo, s1
	v_and_b32_e32 v8, 36, v30
	s_delay_alu instid0(VALU_DEP_1)
	v_cmp_ne_u32_e32 vcc_lo, 0, v8
	v_mov_b32_e32 v8, -1
	s_and_saveexec_b32 s0, vcc_lo
	s_cbranch_execz .LBB6_23
; %bb.21:
	s_cbranch_execnz .LBB6_1460
; %bb.22:
	ds_load_b32 v8, v0
.LBB6_23:
	s_or_b32 exec_lo, exec_lo, s0
	v_and_b32_e32 v9, 24, v30
	s_mov_b32 s1, exec_lo
	s_delay_alu instid0(VALU_DEP_1)
	v_cmpx_ne_u32_e32 0, v9
	s_cbranch_execz .LBB6_26
; %bb.24:
	s_cbranch_execnz .LBB6_1462
; %bb.25:
	s_waitcnt lgkmcnt(0)
	ds_load_b32 v8, v0
.LBB6_26:
	s_or_b32 exec_lo, exec_lo, s1
	s_waitcnt vmcnt(1)
	v_lshrrev_b64 v[6:7], 31, v[6:7]
	v_mov_b32_e32 v54, 0
	v_mov_b32_e32 v55, 0
                                        ; implicit-def: $vgpr52_vgpr53
                                        ; implicit-def: $vgpr145
                                        ; implicit-def: $vgpr66_vgpr67
                                        ; implicit-def: $vgpr68_vgpr69
                                        ; implicit-def: $vgpr82_vgpr83
                                        ; implicit-def: $vgpr64_vgpr65
	s_delay_alu instid0(VALU_DEP_2) | instskip(NEXT) | instid1(VALU_DEP_2)
	v_dual_mov_b32 v6, v54 :: v_dual_and_b32 v19, 3, v6
	v_mov_b32_e32 v7, v55
	s_and_saveexec_b32 s0, vcc_lo
	s_cbranch_execz .LBB6_39
; %bb.27:
	s_cbranch_execnz .LBB6_1464
; %bb.28:
	ds_load_b64 v[6:7], v0
	s_waitcnt lgkmcnt(1)
	v_ashrrev_i32_e32 v9, 31, v8
	s_mov_b32 s1, exec_lo
                                        ; implicit-def: $vgpr52_vgpr53
	s_delay_alu instid0(VALU_DEP_1) | instskip(SKIP_2) | instid1(VALU_DEP_2)
	v_lshlrev_b64 v[20:21], 3, v[8:9]
	v_and_b32_e32 v9, 0xffff, v19
	s_waitcnt lgkmcnt(0)
	v_add_co_u32 v6, vcc_lo, v6, v20
	s_delay_alu instid0(VALU_DEP_3)
	v_add_co_ci_u32_e32 v7, vcc_lo, v7, v21, vcc_lo
	flat_load_b64 v[6:7], v[6:7]
	s_waitcnt vmcnt(0) lgkmcnt(0)
	v_mad_u64_u32 v[20:21], null, 0xa8, v9, v[6:7]
	flat_load_b32 v6, v[20:21] offset:640
	v_add_co_u32 v54, vcc_lo, 0x1f8, v20
	v_add_co_ci_u32_e32 v55, vcc_lo, 0, v21, vcc_lo
	s_waitcnt vmcnt(0) lgkmcnt(0)
	v_cmpx_eq_u32_e32 1, v6
	s_cbranch_execz .LBB6_31
; %bb.29:
	flat_load_b64 v[52:53], v[54:55] offset:144
	s_waitcnt vmcnt(0) lgkmcnt(0)
	flat_load_b64 v[6:7], v[52:53]
	s_cbranch_execnz .LBB6_1472
; %bb.30:
	s_waitcnt vmcnt(0) lgkmcnt(0)
	ds_store_b64 v0, v[6:7]
	flat_load_b64 v[6:7], v[52:53] offset:8
	v_or_b32_e32 v30, 0x2000, v30
	s_waitcnt vmcnt(0) lgkmcnt(0)
	ds_store_b64 v0, v[6:7]
	flat_load_b64 v[6:7], v[52:53] offset:16
	s_waitcnt vmcnt(0) lgkmcnt(0)
	ds_store_b64 v0, v[6:7]
.LBB6_31:
	s_or_b32 exec_lo, exec_lo, s1
	flat_load_b64 v[6:7], v[54:55] offset:104
	v_and_b32_e32 v9, 32, v30
	s_mov_b32 s1, exec_lo
                                        ; implicit-def: $vgpr64_vgpr65
	s_waitcnt vmcnt(0) lgkmcnt(0)
	v_add_co_u32 v6, vcc_lo, v6, 3
	v_add_co_ci_u32_e32 v67, vcc_lo, 0, v7, vcc_lo
	s_delay_alu instid0(VALU_DEP_2)
	v_and_b32_e32 v66, -4, v6
	v_cmpx_ne_u32_e32 0, v9
	s_cbranch_execz .LBB6_33
; %bb.32:
	flat_load_b64 v[64:65], v[54:55] offset:56
	s_waitcnt vmcnt(0) lgkmcnt(0)
	s_waitcnt_vscnt null, 0x0
	flat_store_b64 v[64:65], v[66:67]
.LBB6_33:
	s_or_b32 exec_lo, exec_lo, s1
	v_dual_mov_b32 v6, 0 :: v_dual_and_b32 v9, 4, v30
	v_mov_b32_e32 v7, 0
	s_mov_b32 s1, exec_lo
                                        ; implicit-def: $vgpr145
                                        ; implicit-def: $vgpr68_vgpr69
                                        ; implicit-def: $vgpr82_vgpr83
	s_delay_alu instid0(VALU_DEP_2)
	v_cmpx_ne_u32_e32 0, v9
	s_cbranch_execz .LBB6_38
; %bb.34:
	v_and_b32_e32 v6, 0x800, v30
	s_mov_b32 s3, exec_lo
	s_delay_alu instid0(VALU_DEP_1)
	v_cmpx_eq_u32_e32 0, v6
	s_cbranch_execz .LBB6_37
; %bb.35:
	s_cbranch_execnz .LBB6_1474
; %bb.36:
	ds_store_b64 v0, v[54:55]
.LBB6_37:
	s_or_b32 exec_lo, exec_lo, s3
	flat_load_b64 v[64:65], v[54:55] offset:48
	v_or_b32_e32 v20, 0x100, v30
	s_waitcnt vmcnt(0) lgkmcnt(0)
	flat_load_b64 v[82:83], v[64:65] glc
	s_clause 0x2
	flat_load_b32 v9, v[54:55] offset:72
	flat_load_b64 v[6:7], v[54:55] offset:96
	flat_load_b64 v[68:69], v[54:55] offset:16
	s_waitcnt vmcnt(2) lgkmcnt(2)
	v_ashrrev_i32_e32 v145, 3, v9
	s_waitcnt vmcnt(1) lgkmcnt(1)
	v_cmp_eq_u64_e32 vcc_lo, 0, v[6:7]
	v_cndmask_b32_e32 v30, v20, v30, vcc_lo
.LBB6_38:
	s_or_b32 exec_lo, exec_lo, s1
.LBB6_39:
	s_delay_alu instid0(SALU_CYCLE_1) | instskip(NEXT) | instid1(VALU_DEP_1)
	s_or_b32 exec_lo, exec_lo, s0
	v_and_b32_e32 v9, 24, v30
	s_mov_b32 s0, exec_lo
                                        ; implicit-def: $vgpr70_vgpr71
	s_delay_alu instid0(VALU_DEP_1)
	v_cmpx_ne_u32_e32 0, v9
	s_cbranch_execz .LBB6_49
; %bb.40:
	s_cbranch_execnz .LBB6_1466
; %bb.41:
	ds_load_b64 v[6:7], v0
	s_waitcnt lgkmcnt(1)
	v_ashrrev_i32_e32 v9, 31, v8
	s_mov_b32 s1, exec_lo
                                        ; implicit-def: $vgpr70_vgpr71
	s_delay_alu instid0(VALU_DEP_1) | instskip(SKIP_1) | instid1(VALU_DEP_1)
	v_lshlrev_b64 v[8:9], 3, v[8:9]
	s_waitcnt lgkmcnt(0)
	v_add_co_u32 v6, vcc_lo, v6, v8
	s_delay_alu instid0(VALU_DEP_2)
	v_add_co_ci_u32_e32 v7, vcc_lo, v7, v9, vcc_lo
	v_and_b32_e32 v8, 0xffff, v19
	v_or_b32_e32 v19, 0x100, v30
	flat_load_b64 v[6:7], v[6:7]
	s_waitcnt vmcnt(0) lgkmcnt(0)
	v_mad_u64_u32 v[54:55], null, 0xa8, v8, v[6:7]
	flat_load_b128 v[6:9], v[54:55] offset:96
	s_waitcnt vmcnt(0) lgkmcnt(0)
	v_cmp_eq_u64_e32 vcc_lo, 0, v[6:7]
	v_cndmask_b32_e32 v30, v19, v30, vcc_lo
	s_delay_alu instid0(VALU_DEP_1) | instskip(NEXT) | instid1(VALU_DEP_1)
	v_and_b32_e32 v19, 16, v30
	v_cmpx_ne_u32_e32 0, v19
; %bb.42:
	s_clause 0x2
	flat_load_b64 v[70:71], v[54:55] offset:120
	flat_load_b64 v[64:65], v[54:55] offset:48
	;; [unrolled: 1-line block ×3, first 2 shown]
; %bb.43:
	s_or_b32 exec_lo, exec_lo, s1
	v_and_b32_e32 v19, 8, v30
	s_mov_b32 s1, exec_lo
	s_delay_alu instid0(VALU_DEP_1)
	v_cmpx_ne_u32_e32 0, v19
	s_cbranch_execz .LBB6_48
; %bb.44:
	v_and_b32_e32 v19, 0x800, v30
	s_mov_b32 s3, exec_lo
	s_delay_alu instid0(VALU_DEP_1)
	v_cmpx_eq_u32_e32 0, v19
	s_cbranch_execz .LBB6_47
; %bb.45:
	s_cbranch_execnz .LBB6_1476
; %bb.46:
	ds_store_b64 v0, v[54:55]
.LBB6_47:
	s_or_b32 exec_lo, exec_lo, s3
	s_waitcnt vmcnt(1) lgkmcnt(1)
	flat_load_b64 v[64:65], v[54:55] offset:56
	s_waitcnt vmcnt(0) lgkmcnt(0)
	flat_load_b64 v[82:83], v[64:65] glc
	s_clause 0x1
	flat_load_b32 v19, v[54:55] offset:72
	flat_load_b64 v[68:69], v[54:55] offset:16
	s_waitcnt vmcnt(1) lgkmcnt(1)
	v_ashrrev_i32_e32 v145, 3, v19
.LBB6_48:
	s_or_b32 exec_lo, exec_lo, s1
	v_add_co_u32 v8, vcc_lo, v8, 3
	v_add_co_ci_u32_e32 v67, vcc_lo, 0, v9, vcc_lo
	s_delay_alu instid0(VALU_DEP_2)
	v_and_b32_e32 v66, -4, v8
.LBB6_49:
	s_or_b32 exec_lo, exec_lo, s0
	v_cmp_eq_u32_e64 s0, 0, v0
	s_delay_alu instid0(VALU_DEP_1)
	s_and_saveexec_b32 s1, s0
	s_cbranch_execz .LBB6_52
; %bb.50:
	s_waitcnt lgkmcnt(0)
	flat_load_b64 v[8:9], v[2:3] offset:32
	ds_store_2addr_b64 v0, v[12:13], v[10:11] offset1:1
	s_cbranch_execnz .LBB6_1468
; %bb.51:
	s_waitcnt vmcnt(0) lgkmcnt(1)
	ds_store_b64 v0, v[8:9]
	ds_store_b64 v0, v[15:16]
.LBB6_52:
	s_or_b32 exec_lo, exec_lo, s1
	v_mov_b32_e32 v80, 0
	s_waitcnt vmcnt(0)
	v_dual_mov_b32 v81, 0 :: v_dual_and_b32 v144, 0xffff, v18
	s_mov_b32 s28, exec_lo
	v_cmpx_lt_i64_e32 0, v[4:5]
	s_cbranch_execz .LBB6_1447
; %bb.53:
	s_waitcnt lgkmcnt(0)
	flat_load_b32 v8, v[2:3] offset:4
	v_dual_mov_b32 v3, 0 :: v_dual_and_b32 v2, 31, v31
	s_ashr_i32 s29, s27, 31
	s_add_u32 vcc_hi, s27, -1
	s_addc_u32 s22, s29, -1
	s_not_b32 s3, s27
	v_cmp_ge_i32_e32 vcc_lo, v0, v1
	v_cmp_eq_u32_e64 s1, 0, v2
	s_cmp_gt_i32 s27, 0
	s_mov_b32 s23, 0
	s_cselect_b32 s5, s3, -1
	s_cbranch_execnz .LBB6_1470
; %bb.54:
	v_ashrrev_i32_e32 v9, 31, v0
	v_lshrrev_b32_e32 v147, 5, v1
	v_and_b32_e32 v2, 0x7ffffc0, v14
	s_ashr_i32 s6, s2, 31
	s_add_i32 s18, s27, s27
	v_lshrrev_b32_e32 v9, 27, v9
	v_lshlrev_b32_e32 v165, 8, v147
	s_lshr_b32 s6, s6, 29
	s_add_i32 s30, s5, s18
	s_add_i32 s2, s2, s6
	v_dual_mov_b32 v86, 0 :: v_dual_add_nc_u32 v9, v0, v9
	v_mov_b32_e32 v87, 0
	s_delay_alu instid0(VALU_DEP_2) | instskip(NEXT) | instid1(VALU_DEP_3)
	v_dual_mov_b32 v80, v86 :: v_dual_lshlrev_b32 v151, 9, v147
	v_dual_mov_b32 v21, 1 :: v_dual_and_b32 v10, 0xffffffe0, v9
	v_ashrrev_i32_e32 v148, 5, v9
	v_dual_mov_b32 v97, v3 :: v_dual_add_nc_u32 v176, 0xffffff00, v165
	s_delay_alu instid0(VALU_DEP_3) | instskip(SKIP_1) | instid1(VALU_DEP_4)
	v_sub_nc_u32_e32 v149, v0, v10
	v_lshl_add_u32 v10, v147, 12, 0xfffff000
	v_dual_mov_b32 v96, v2 :: v_dual_lshlrev_b32 v9, 12, v148
	v_add_nc_u32_e32 v161, 0xfffffe00, v151
	v_ashrrev_i32_e32 v179, 31, v176
	s_delay_alu instid0(VALU_DEP_4) | instskip(NEXT) | instid1(VALU_DEP_4)
	v_add_co_u32 v162, s7, 0x1000, v10
	v_lshl_add_u32 v150, v149, 4, v9
	v_ashrrev_i32_e32 v9, 31, v10
	v_ashrrev_i32_e32 v164, 31, v161
	s_waitcnt vmcnt(0) lgkmcnt(0)
	v_dual_mov_b32 v81, v87 :: v_dual_and_b32 v8, 1, v8
	s_ashr_i32 s2, s2, 6
	v_add_co_ci_u32_e64 v163, s7, 0, v9, s7
	v_lshl_add_u32 v9, v147, 10, 0xfffffc00
	v_add_co_u32 v166, s7, 0x200, v161
	s_delay_alu instid0(VALU_DEP_1) | instskip(NEXT) | instid1(VALU_DEP_3)
	v_add_co_ci_u32_e64 v167, s7, 0, v164, s7
	v_ashrrev_i32_e32 v10, 31, v9
	v_add_co_u32 v177, s7, 0x400, v9
	s_lshr_b32 s5, s2, 28
	v_lshlrev_b32_e32 v9, 11, v148
	s_delay_alu instid0(VALU_DEP_3) | instskip(SKIP_1) | instid1(VALU_DEP_1)
	v_add_co_ci_u32_e64 v178, s7, 0, v10, s7
	v_add_co_u32 v180, s7, 0x100, v176
	v_add_co_ci_u32_e64 v181, s7, 0, v179, s7
	s_add_i32 s2, s2, s5
	v_cmp_eq_u32_e64 s7, 1, v8
	v_lshl_add_u32 v8, v147, 11, 0xfffff800
	s_ashr_i32 s31, s30, 31
	s_ashr_i32 s19, s2, 4
	s_cmp_gt_i32 s27, 2
	v_sub_nc_u32_e32 v182, v150, v9
	s_cselect_b32 s34, -1, 0
	s_add_i32 s2, s27, 1
	v_ashrrev_i32_e32 v9, 31, v8
	s_xor_b32 s21, s7, -1
	v_mad_i64_i32 v[84:85], null, v2, s27, 0
	s_cmp_le_i32 s27, s2
	v_add_co_u32 v40, s13, 0x800, v8
	v_cmp_eq_u64_e64 s10, 0, v[70:71]
	v_cmp_ne_u64_e64 s6, 0, v[70:71]
	s_cselect_b32 s11, s27, 0
	v_ashrrev_i32_e32 v146, 31, v145
	v_cmp_eq_u32_e64 s4, 32, v1
	v_cmp_ne_u32_e64 s3, 32, v1
	v_cmp_ne_u32_e64 s41, v144, v1
	v_cmp_gt_i32_e64 s25, 1, v149
	v_cmp_lt_i32_e64 s5, v149, v17
	v_ashrrev_i32_e32 v160, 31, v150
	v_cmp_le_i32_e64 s16, v149, v17
	v_ashrrev_i32_e32 v183, 31, v182
	v_add_co_ci_u32_e64 v116, s13, 0, v9, s13
	s_sub_i32 s24, s2, s11
	s_add_i32 s20, s27, -2
	s_ashr_i32 s35, s24, 31
	s_xor_b32 s36, vcc_lo, -1
	s_brev_b32 s11, 1
	s_sub_i32 s37, 0, s27
	s_mov_b32 s14, 0
                                        ; implicit-def: $vgpr74 : SGPR spill to VGPR lane
	v_writelane_b32 v74, s4, 0
.LBB6_55:                               ; =>This Loop Header: Depth=1
                                        ;     Child Loop BB6_63 Depth 2
                                        ;       Child Loop BB6_72 Depth 3
                                        ;       Child Loop BB6_101 Depth 3
	;; [unrolled: 1-line block ×9, first 2 shown]
                                        ;     Child Loop BB6_229 Depth 2
                                        ;       Child Loop BB6_235 Depth 3
                                        ;       Child Loop BB6_264 Depth 3
	;; [unrolled: 1-line block ×3, first 2 shown]
                                        ;     Child Loop BB6_312 Depth 2
                                        ;       Child Loop BB6_314 Depth 3
                                        ;         Child Loop BB6_323 Depth 4
                                        ;         Child Loop BB6_355 Depth 4
                                        ;         Child Loop BB6_378 Depth 4
                                        ;         Child Loop BB6_402 Depth 4
                                        ;         Child Loop BB6_408 Depth 4
                                        ;         Child Loop BB6_418 Depth 4
                                        ;         Child Loop BB6_424 Depth 4
                                        ;         Child Loop BB6_436 Depth 4
                                        ;         Child Loop BB6_462 Depth 4
                                        ;       Child Loop BB6_483 Depth 3
                                        ;         Child Loop BB6_489 Depth 4
                                        ;         Child Loop BB6_519 Depth 4
	;; [unrolled: 1-line block ×3, first 2 shown]
                                        ;     Child Loop BB6_569 Depth 2
                                        ;       Child Loop BB6_578 Depth 3
                                        ;       Child Loop BB6_610 Depth 3
	;; [unrolled: 1-line block ×5, first 2 shown]
                                        ;         Child Loop BB6_679 Depth 4
                                        ;       Child Loop BB6_695 Depth 3
                                        ;       Child Loop BB6_706 Depth 3
                                        ;         Child Loop BB6_707 Depth 4
                                        ;       Child Loop BB6_729 Depth 3
                                        ;       Child Loop BB6_740 Depth 3
	;; [unrolled: 1-line block ×6, first 2 shown]
                                        ;     Child Loop BB6_825 Depth 2
                                        ;       Child Loop BB6_831 Depth 3
                                        ;       Child Loop BB6_863 Depth 3
                                        ;       Child Loop BB6_890 Depth 3
                                        ;     Child Loop BB6_911 Depth 2
                                        ;       Child Loop BB6_913 Depth 3
                                        ;         Child Loop BB6_922 Depth 4
                                        ;         Child Loop BB6_952 Depth 4
	;; [unrolled: 1-line block ×5, first 2 shown]
                                        ;           Child Loop BB6_1007 Depth 5
                                        ;         Child Loop BB6_1018 Depth 4
                                        ;         Child Loop BB6_1024 Depth 4
                                        ;           Child Loop BB6_1025 Depth 5
                                        ;         Child Loop BB6_1039 Depth 4
                                        ;         Child Loop BB6_1045 Depth 4
	;; [unrolled: 1-line block ×6, first 2 shown]
                                        ;       Child Loop BB6_1120 Depth 3
                                        ;         Child Loop BB6_1126 Depth 4
                                        ;         Child Loop BB6_1156 Depth 4
	;; [unrolled: 1-line block ×3, first 2 shown]
                                        ;     Child Loop BB6_1206 Depth 2
                                        ;       Child Loop BB6_1215 Depth 3
                                        ;       Child Loop BB6_1242 Depth 3
	;; [unrolled: 1-line block ×9, first 2 shown]
                                        ;     Child Loop BB6_1368 Depth 2
                                        ;       Child Loop BB6_1374 Depth 3
                                        ;       Child Loop BB6_1401 Depth 3
                                        ;       Child Loop BB6_1428 Depth 3
	v_sub_co_u32 v98, vcc_lo, v4, v86
	v_sub_co_ci_u32_e32 v99, vcc_lo, v5, v87, vcc_lo
	s_mov_b32 s2, exec_lo
	s_delay_alu instid0(VALU_DEP_1)
	v_cmpx_lt_i64_e64 v[98:99], v[84:85]
	s_cbranch_execz .LBB6_61
; %bb.56:                               ;   in Loop: Header=BB6_55 Depth=1
	v_add_co_u32 v2, vcc_lo, vcc_hi, v98
	v_add_co_ci_u32_e32 v10, vcc_lo, s22, v99, vcc_lo
	v_mov_b32_e32 v8, v3
	s_delay_alu instid0(VALU_DEP_2) | instskip(NEXT) | instid1(VALU_DEP_1)
	v_or_b32_e32 v9, s29, v10
	v_cmp_ne_u64_e32 vcc_lo, 0, v[8:9]
                                        ; implicit-def: $vgpr8_vgpr9
	s_and_saveexec_b32 s12, vcc_lo
	s_delay_alu instid0(SALU_CYCLE_1)
	s_xor_b32 s12, exec_lo, s12
	s_cbranch_execz .LBB6_58
; %bb.57:                               ;   in Loop: Header=BB6_55 Depth=1
	s_mov_b32 s38, s16
	s_add_u32 s16, s27, s29
	s_mov_b32 s39, s14
	s_mov_b32 s14, s29
	;; [unrolled: 1-line block ×3, first 2 shown]
	s_addc_u32 s17, s29, s29
	s_delay_alu instid0(SALU_CYCLE_1) | instskip(NEXT) | instid1(SALU_CYCLE_1)
	s_xor_b64 s[16:17], s[16:17], s[14:15]
	v_cvt_f32_u32_e32 v8, s16
	v_cvt_f32_u32_e32 v9, s17
	s_sub_u32 s13, 0, s16
	s_subb_u32 s40, 0, s17
	s_delay_alu instid0(VALU_DEP_1) | instskip(NEXT) | instid1(VALU_DEP_1)
	v_fmac_f32_e32 v8, 0x4f800000, v9
	v_rcp_f32_e32 v8, v8
	s_waitcnt_depctr 0xfff
	v_mul_f32_e32 v8, 0x5f7ffffc, v8
	s_delay_alu instid0(VALU_DEP_1) | instskip(NEXT) | instid1(VALU_DEP_1)
	v_mul_f32_e32 v9, 0x2f800000, v8
	v_trunc_f32_e32 v9, v9
	s_delay_alu instid0(VALU_DEP_1) | instskip(SKIP_1) | instid1(VALU_DEP_2)
	v_fmac_f32_e32 v8, 0xcf800000, v9
	v_cvt_u32_f32_e32 v9, v9
	v_cvt_u32_f32_e32 v8, v8
	s_delay_alu instid0(VALU_DEP_2) | instskip(NEXT) | instid1(VALU_DEP_2)
	v_mul_lo_u32 v11, s13, v9
	v_mul_hi_u32 v12, s13, v8
	v_mul_lo_u32 v13, s40, v8
	s_delay_alu instid0(VALU_DEP_2) | instskip(SKIP_1) | instid1(VALU_DEP_2)
	v_add_nc_u32_e32 v11, v12, v11
	v_mul_lo_u32 v12, s13, v8
	v_add_nc_u32_e32 v11, v11, v13
	s_delay_alu instid0(VALU_DEP_2) | instskip(NEXT) | instid1(VALU_DEP_2)
	v_mul_hi_u32 v13, v8, v12
	v_mul_lo_u32 v14, v8, v11
	v_mul_hi_u32 v15, v8, v11
	v_mul_hi_u32 v16, v9, v12
	v_mul_lo_u32 v12, v9, v12
	v_mul_hi_u32 v17, v9, v11
	v_mul_lo_u32 v11, v9, v11
	v_add_co_u32 v13, vcc_lo, v13, v14
	v_add_co_ci_u32_e32 v14, vcc_lo, 0, v15, vcc_lo
	s_delay_alu instid0(VALU_DEP_2) | instskip(NEXT) | instid1(VALU_DEP_2)
	v_add_co_u32 v12, vcc_lo, v13, v12
	v_add_co_ci_u32_e32 v12, vcc_lo, v14, v16, vcc_lo
	v_add_co_ci_u32_e32 v13, vcc_lo, 0, v17, vcc_lo
	v_ashrrev_i32_e32 v16, 31, v10
	s_delay_alu instid0(VALU_DEP_3) | instskip(NEXT) | instid1(VALU_DEP_3)
	v_add_co_u32 v11, vcc_lo, v12, v11
	v_add_co_ci_u32_e32 v12, vcc_lo, 0, v13, vcc_lo
	s_delay_alu instid0(VALU_DEP_2) | instskip(NEXT) | instid1(VALU_DEP_2)
	v_add_co_u32 v8, vcc_lo, v8, v11
	v_add_co_ci_u32_e32 v9, vcc_lo, v9, v12, vcc_lo
	s_delay_alu instid0(VALU_DEP_2) | instskip(SKIP_1) | instid1(VALU_DEP_3)
	v_mul_hi_u32 v11, s13, v8
	v_mul_lo_u32 v13, s40, v8
	v_mul_lo_u32 v12, s13, v9
	s_delay_alu instid0(VALU_DEP_1) | instskip(SKIP_1) | instid1(VALU_DEP_2)
	v_add_nc_u32_e32 v11, v11, v12
	v_mul_lo_u32 v12, s13, v8
	v_add_nc_u32_e32 v11, v11, v13
	s_delay_alu instid0(VALU_DEP_2) | instskip(NEXT) | instid1(VALU_DEP_2)
	v_mul_hi_u32 v13, v8, v12
	v_mul_lo_u32 v14, v8, v11
	v_mul_hi_u32 v15, v8, v11
	v_mul_hi_u32 v17, v9, v12
	v_mul_lo_u32 v12, v9, v12
	v_mul_hi_u32 v18, v9, v11
	v_mul_lo_u32 v11, v9, v11
	v_add_co_u32 v13, vcc_lo, v13, v14
	v_add_co_ci_u32_e32 v14, vcc_lo, 0, v15, vcc_lo
	s_delay_alu instid0(VALU_DEP_2) | instskip(NEXT) | instid1(VALU_DEP_2)
	v_add_co_u32 v12, vcc_lo, v13, v12
	v_add_co_ci_u32_e32 v12, vcc_lo, v14, v17, vcc_lo
	v_add_co_ci_u32_e32 v13, vcc_lo, 0, v18, vcc_lo
	v_add_co_u32 v2, vcc_lo, v2, v16
	v_add_co_ci_u32_e32 v10, vcc_lo, v10, v16, vcc_lo
	s_delay_alu instid0(VALU_DEP_4) | instskip(NEXT) | instid1(VALU_DEP_4)
	v_add_co_u32 v11, vcc_lo, v12, v11
	v_add_co_ci_u32_e32 v12, vcc_lo, 0, v13, vcc_lo
	s_delay_alu instid0(VALU_DEP_4) | instskip(NEXT) | instid1(VALU_DEP_3)
	v_xor_b32_e32 v2, v2, v16
	v_add_co_u32 v13, vcc_lo, v8, v11
	s_delay_alu instid0(VALU_DEP_3) | instskip(SKIP_1) | instid1(VALU_DEP_3)
	v_add_co_ci_u32_e32 v14, vcc_lo, v9, v12, vcc_lo
	v_xor_b32_e32 v15, v10, v16
	v_mul_hi_u32 v17, v2, v13
	s_delay_alu instid0(VALU_DEP_3) | instskip(NEXT) | instid1(VALU_DEP_3)
	v_mad_u64_u32 v[8:9], null, v2, v14, 0
	v_mad_u64_u32 v[10:11], null, v15, v13, 0
	;; [unrolled: 1-line block ×3, first 2 shown]
	s_delay_alu instid0(VALU_DEP_3) | instskip(NEXT) | instid1(VALU_DEP_4)
	v_add_co_u32 v8, vcc_lo, v17, v8
	v_add_co_ci_u32_e32 v9, vcc_lo, 0, v9, vcc_lo
	s_delay_alu instid0(VALU_DEP_2) | instskip(NEXT) | instid1(VALU_DEP_2)
	v_add_co_u32 v8, vcc_lo, v8, v10
	v_add_co_ci_u32_e32 v8, vcc_lo, v9, v11, vcc_lo
	v_add_co_ci_u32_e32 v9, vcc_lo, 0, v13, vcc_lo
	s_delay_alu instid0(VALU_DEP_2) | instskip(NEXT) | instid1(VALU_DEP_2)
	v_add_co_u32 v10, vcc_lo, v8, v12
	v_add_co_ci_u32_e32 v11, vcc_lo, 0, v9, vcc_lo
	s_delay_alu instid0(VALU_DEP_2) | instskip(SKIP_1) | instid1(VALU_DEP_3)
	v_mul_lo_u32 v12, s17, v10
	v_mad_u64_u32 v[8:9], null, s16, v10, 0
	v_mul_lo_u32 v13, s16, v11
	s_delay_alu instid0(VALU_DEP_2) | instskip(NEXT) | instid1(VALU_DEP_2)
	v_sub_co_u32 v2, vcc_lo, v2, v8
	v_add3_u32 v9, v9, v13, v12
	s_delay_alu instid0(VALU_DEP_1) | instskip(NEXT) | instid1(VALU_DEP_1)
	v_sub_nc_u32_e32 v12, v15, v9
	v_subrev_co_ci_u32_e64 v8, s13, s17, v12, vcc_lo
	v_add_co_u32 v12, s13, v10, 2
	s_delay_alu instid0(VALU_DEP_1) | instskip(SKIP_3) | instid1(VALU_DEP_3)
	v_add_co_ci_u32_e64 v13, s13, 0, v11, s13
	v_sub_co_u32 v14, s13, v2, s16
	v_sub_co_ci_u32_e32 v9, vcc_lo, v15, v9, vcc_lo
	v_subrev_co_ci_u32_e64 v8, s13, 0, v8, s13
	v_cmp_le_u32_e32 vcc_lo, s16, v14
	s_delay_alu instid0(VALU_DEP_3) | instskip(SKIP_1) | instid1(VALU_DEP_4)
	v_cmp_eq_u32_e64 s13, s17, v9
	v_cndmask_b32_e64 v14, 0, -1, vcc_lo
	v_cmp_le_u32_e32 vcc_lo, s17, v8
	v_cndmask_b32_e64 v15, 0, -1, vcc_lo
	v_cmp_le_u32_e32 vcc_lo, s16, v2
	s_mov_b32 s16, s38
	v_cndmask_b32_e64 v2, 0, -1, vcc_lo
	v_cmp_le_u32_e32 vcc_lo, s17, v9
	v_cndmask_b32_e64 v17, 0, -1, vcc_lo
	v_cmp_eq_u32_e32 vcc_lo, s17, v8
	s_delay_alu instid0(VALU_DEP_2) | instskip(SKIP_3) | instid1(VALU_DEP_3)
	v_cndmask_b32_e64 v2, v17, v2, s13
	v_cndmask_b32_e32 v8, v15, v14, vcc_lo
	v_add_co_u32 v14, vcc_lo, v10, 1
	v_add_co_ci_u32_e32 v15, vcc_lo, 0, v11, vcc_lo
	v_cmp_ne_u32_e32 vcc_lo, 0, v8
	s_delay_alu instid0(VALU_DEP_2) | instskip(SKIP_3) | instid1(VALU_DEP_3)
	v_dual_cndmask_b32 v8, v15, v13 :: v_dual_cndmask_b32 v9, v14, v12
	v_cmp_ne_u32_e32 vcc_lo, 0, v2
	v_xor_b32_e32 v2, s14, v16
	s_mov_b32 s14, s39
	v_dual_cndmask_b32 v8, v11, v8 :: v_dual_cndmask_b32 v9, v10, v9
	v_xor_b32_e32 v10, s15, v16
	s_delay_alu instid0(VALU_DEP_2) | instskip(NEXT) | instid1(VALU_DEP_2)
	v_xor_b32_e32 v9, v9, v2
	v_xor_b32_e32 v11, v8, v10
	s_delay_alu instid0(VALU_DEP_2) | instskip(NEXT) | instid1(VALU_DEP_2)
	v_sub_co_u32 v8, vcc_lo, v9, v2
	v_sub_co_ci_u32_e32 v9, vcc_lo, v11, v10, vcc_lo
                                        ; implicit-def: $vgpr2
.LBB6_58:                               ;   in Loop: Header=BB6_55 Depth=1
	s_and_not1_saveexec_b32 s12, s12
	s_cbranch_execz .LBB6_60
; %bb.59:                               ;   in Loop: Header=BB6_55 Depth=1
	v_cvt_f32_u32_e32 v8, s27
	s_delay_alu instid0(VALU_DEP_1) | instskip(SKIP_2) | instid1(VALU_DEP_1)
	v_rcp_iflag_f32_e32 v8, v8
	s_waitcnt_depctr 0xfff
	v_mul_f32_e32 v8, 0x4f7ffffe, v8
	v_cvt_u32_f32_e32 v8, v8
	s_delay_alu instid0(VALU_DEP_1) | instskip(NEXT) | instid1(VALU_DEP_1)
	v_mul_lo_u32 v9, s37, v8
	v_mul_hi_u32 v9, v8, v9
	s_delay_alu instid0(VALU_DEP_1) | instskip(NEXT) | instid1(VALU_DEP_1)
	v_add_nc_u32_e32 v8, v8, v9
	v_mul_hi_u32 v8, v2, v8
	s_delay_alu instid0(VALU_DEP_1) | instskip(NEXT) | instid1(VALU_DEP_1)
	v_mul_lo_u32 v9, v8, s27
	v_sub_nc_u32_e32 v2, v2, v9
	s_delay_alu instid0(VALU_DEP_1) | instskip(SKIP_1) | instid1(VALU_DEP_2)
	v_subrev_nc_u32_e32 v10, s27, v2
	v_cmp_le_u32_e32 vcc_lo, s27, v2
	v_dual_cndmask_b32 v2, v2, v10 :: v_dual_add_nc_u32 v9, 1, v8
	s_delay_alu instid0(VALU_DEP_1) | instskip(NEXT) | instid1(VALU_DEP_2)
	v_cndmask_b32_e32 v8, v8, v9, vcc_lo
	v_cmp_le_u32_e32 vcc_lo, s27, v2
	s_delay_alu instid0(VALU_DEP_2) | instskip(NEXT) | instid1(VALU_DEP_1)
	v_add_nc_u32_e32 v9, 1, v8
	v_cndmask_b32_e32 v2, v8, v9, vcc_lo
	s_delay_alu instid0(VALU_DEP_1)
	v_dual_mov_b32 v9, v3 :: v_dual_mov_b32 v8, v2
.LBB6_60:                               ;   in Loop: Header=BB6_55 Depth=1
	s_or_b32 exec_lo, exec_lo, s12
	s_delay_alu instid0(VALU_DEP_1) | instskip(NEXT) | instid1(VALU_DEP_2)
	v_add_co_u32 v2, vcc_lo, v8, 1
	v_add_co_ci_u32_e32 v97, vcc_lo, 0, v9, vcc_lo
	s_delay_alu instid0(VALU_DEP_2)
	v_and_b32_e32 v96, -2, v2
.LBB6_61:                               ;   in Loop: Header=BB6_55 Depth=1
	s_or_b32 exec_lo, exec_lo, s2
	s_delay_alu instid0(VALU_DEP_2) | instskip(NEXT) | instid1(VALU_DEP_2)
	v_mul_lo_u32 v2, v97, s30
	v_mul_lo_u32 v8, v96, s31
	v_mad_u64_u32 v[11:12], null, v96, s30, 0
	v_mov_b32_e32 v10, 0
	s_mov_b32 s15, 0
	s_delay_alu instid0(VALU_DEP_2) | instskip(NEXT) | instid1(VALU_DEP_3)
	v_add3_u32 v12, v12, v8, v2
	v_sub_co_u32 v8, vcc_lo, v98, v11
	s_delay_alu instid0(VALU_DEP_2) | instskip(NEXT) | instid1(VALU_DEP_1)
	v_sub_co_ci_u32_e32 v9, vcc_lo, v99, v12, vcc_lo
	v_cmp_lt_i64_e32 vcc_lo, v[96:97], v[8:9]
	v_cndmask_b32_e32 v8, v8, v96, vcc_lo
	v_add_co_u32 v100, vcc_lo, v86, v28
	v_add_co_ci_u32_e32 v101, vcc_lo, v87, v29, vcc_lo
	s_delay_alu instid0(VALU_DEP_3) | instskip(NEXT) | instid1(VALU_DEP_1)
	v_max_i32_e32 v20, 0, v8
	v_add_nc_u32_e32 v2, 31, v20
	s_delay_alu instid0(VALU_DEP_1) | instskip(NEXT) | instid1(VALU_DEP_1)
	v_lshrrev_b32_e32 v2, 1, v2
	v_and_b32_e32 v9, 0x3ffffff0, v2
	v_cmp_lt_i32_e32 vcc_lo, 0, v8
	v_mov_b32_e32 v2, 0
	s_delay_alu instid0(VALU_DEP_3) | instskip(SKIP_1) | instid1(SALU_CYCLE_1)
	v_max_i32_e32 v8, s19, v9
	s_and_b32 s2, s36, vcc_lo
	s_and_saveexec_b32 s12, s2
	s_cbranch_execz .LBB6_227
; %bb.62:                               ;   in Loop: Header=BB6_55 Depth=1
	v_lshlrev_b64 v[12:13], 3, v[11:12]
	v_mov_b32_e32 v10, 0
	s_mov_b32 s17, 1
	s_mov_b32 s13, -1
.LBB6_63:                               ;   Parent Loop BB6_55 Depth=1
                                        ; =>  This Loop Header: Depth=2
                                        ;       Child Loop BB6_72 Depth 3
                                        ;       Child Loop BB6_101 Depth 3
	;; [unrolled: 1-line block ×9, first 2 shown]
	s_and_saveexec_b32 s2, s0
	s_cbranch_execz .LBB6_66
; %bb.64:                               ;   in Loop: Header=BB6_63 Depth=2
	s_cbranch_execnz .LBB6_1493
; %bb.65:                               ;   in Loop: Header=BB6_63 Depth=2
	ds_load_b64 v[14:15], v0
	v_lshlrev_b64 v[16:17], 3, v[100:101]
	v_ashrrev_i32_e32 v11, 31, v10
	s_waitcnt lgkmcnt(0)
	s_delay_alu instid0(VALU_DEP_2) | instskip(NEXT) | instid1(VALU_DEP_3)
	v_add_co_u32 v2, vcc_lo, v14, v16
	v_add_co_ci_u32_e32 v9, vcc_lo, v15, v17, vcc_lo
	s_delay_alu instid0(VALU_DEP_3) | instskip(NEXT) | instid1(VALU_DEP_3)
	v_lshlrev_b64 v[14:15], 3, v[10:11]
	v_add_co_u32 v2, vcc_lo, v2, v12
	s_delay_alu instid0(VALU_DEP_3) | instskip(NEXT) | instid1(VALU_DEP_2)
	v_add_co_ci_u32_e32 v9, vcc_lo, v9, v13, vcc_lo
	v_add_co_u32 v14, vcc_lo, v2, v14
	s_delay_alu instid0(VALU_DEP_2)
	v_add_co_ci_u32_e32 v15, vcc_lo, v9, v15, vcc_lo
	v_mov_b32_e32 v2, v3
	ds_store_b64 v0, v[14:15]
	ds_store_b64 v0, v[2:3]
.LBB6_66:                               ;   in Loop: Header=BB6_63 Depth=2
	s_or_b32 exec_lo, exec_lo, s2
	v_and_b32_e32 v2, 8, v30
	s_mov_b32 s4, -1
	s_mov_b32 s2, exec_lo
	s_delay_alu instid0(VALU_DEP_1)
	v_cmpx_ne_u32_e32 0, v2
	s_cbranch_execz .LBB6_80
; %bb.67:                               ;   in Loop: Header=BB6_63 Depth=2
	v_add_co_u32 v16, vcc_lo, v82, 8
	v_add_co_ci_u32_e32 v17, vcc_lo, 0, v83, vcc_lo
	v_add_co_u32 v14, vcc_lo, v66, 2
	v_add_co_ci_u32_e32 v15, vcc_lo, 0, v67, vcc_lo
	v_mov_b32_e32 v2, 1
	s_mov_b32 s4, exec_lo
	s_delay_alu instid0(VALU_DEP_2)
	v_cmpx_lt_u64_e64 v[16:17], v[14:15]
	s_cbranch_execz .LBB6_79
; %bb.68:                               ;   in Loop: Header=BB6_63 Depth=2
	v_mov_b32_e32 v2, 0
	s_mov_b32 s38, 0
                                        ; implicit-def: $sgpr39
	s_branch .LBB6_72
.LBB6_69:                               ;   in Loop: Header=BB6_72 Depth=3
	s_or_b32 exec_lo, exec_lo, s44
	v_mov_b32_e32 v9, 0
	s_or_not1_b32 s43, s43, exec_lo
.LBB6_70:                               ;   in Loop: Header=BB6_72 Depth=3
	s_or_b32 exec_lo, exec_lo, s42
	s_delay_alu instid0(VALU_DEP_1) | instskip(SKIP_2) | instid1(SALU_CYCLE_1)
	v_mov_b32_e32 v2, v9
	s_and_not1_b32 vcc_lo, s39, exec_lo
	s_and_b32 s39, s43, exec_lo
	s_or_b32 s39, vcc_lo, s39
.LBB6_71:                               ;   in Loop: Header=BB6_72 Depth=3
	s_or_b32 exec_lo, exec_lo, s40
	s_waitcnt vmcnt(0) lgkmcnt(0)
	v_add_co_u32 v16, vcc_lo, v82, 8
	v_add_co_ci_u32_e32 v17, vcc_lo, 0, v83, vcc_lo
	s_xor_b32 s40, s39, -1
	s_delay_alu instid0(VALU_DEP_1) | instskip(SKIP_1) | instid1(SALU_CYCLE_1)
	v_cmp_ge_u64_e32 vcc_lo, v[16:17], v[14:15]
	s_or_b32 vcc_lo, s40, vcc_lo
	s_and_b32 vcc_lo, exec_lo, vcc_lo
	s_delay_alu instid0(SALU_CYCLE_1) | instskip(NEXT) | instid1(SALU_CYCLE_1)
	s_or_b32 s38, vcc_lo, s38
	s_and_not1_b32 exec_lo, exec_lo, s38
	s_cbranch_execz .LBB6_78
.LBB6_72:                               ;   Parent Loop BB6_55 Depth=1
                                        ;     Parent Loop BB6_63 Depth=2
                                        ; =>    This Inner Loop Header: Depth=3
	s_sleep 1
	flat_load_b64 v[82:83], v[64:65] glc
	v_and_b32_e32 v9, 64, v30
	s_and_not1_b32 s39, s39, exec_lo
	s_mov_b32 s40, exec_lo
	s_delay_alu instid0(VALU_DEP_1)
	v_cmpx_eq_u32_e32 0, v9
	s_cbranch_execz .LBB6_71
; %bb.73:                               ;   in Loop: Header=BB6_72 Depth=3
	v_add_nc_u32_e32 v9, 1, v2
	s_mov_b32 s43, -1
	s_mov_b32 s42, exec_lo
	v_cmpx_lt_i32_e32 0x270e, v2
	s_cbranch_execz .LBB6_70
; %bb.74:                               ;   in Loop: Header=BB6_72 Depth=3
	s_cbranch_execnz .LBB6_1515
; %bb.75:                               ;   in Loop: Header=BB6_72 Depth=3
	ds_load_b64 v[16:17], v0
	s_mov_b32 s44, exec_lo
	s_waitcnt vmcnt(0) lgkmcnt(0)
	s_waitcnt_vscnt null, 0x0
	flat_load_b32 v2, v[16:17] glc
	s_waitcnt vmcnt(0) lgkmcnt(0)
	buffer_gl1_inv
	buffer_gl0_inv
	v_cmpx_ne_u32_e32 0, v2
	s_cbranch_execz .LBB6_69
; %bb.76:                               ;   in Loop: Header=BB6_72 Depth=3
	ds_store_b32 v0, v2
	s_cbranch_execnz .LBB6_1534
; %bb.77:                               ;   in Loop: Header=BB6_72 Depth=3
	v_or_b32_e32 v30, 64, v30
	s_xor_b32 s43, exec_lo, -1
	s_branch .LBB6_69
.LBB6_78:                               ;   in Loop: Header=BB6_63 Depth=2
	s_or_b32 exec_lo, exec_lo, s38
	v_and_b32_e32 v2, 8, v30
.LBB6_79:                               ;   in Loop: Header=BB6_63 Depth=2
	s_or_b32 exec_lo, exec_lo, s4
	s_delay_alu instid0(VALU_DEP_1)
	v_cmp_eq_u32_e32 vcc_lo, 0, v2
	;;#ASMSTART
	s_wakeup
	;;#ASMEND
	s_or_not1_b32 s4, vcc_lo, exec_lo
.LBB6_80:                               ;   in Loop: Header=BB6_63 Depth=2
	s_or_b32 exec_lo, exec_lo, s2
	v_sub_nc_u32_e32 v2, v20, v10
	s_xor_b32 s4, s4, -1
	s_delay_alu instid0(VALU_DEP_1)
	v_min_i32_e32 v8, v8, v2
	s_and_saveexec_b32 s2, s4
	s_cbranch_execz .LBB6_90
; %bb.81:                               ;   in Loop: Header=BB6_63 Depth=2
	v_and_b32_e32 v2, 0x100, v30
	v_and_b32_e32 v14, 7, v66
	s_mov_b32 s38, 0
	s_mov_b32 s4, exec_lo
                                        ; implicit-def: $vgpr16_vgpr17
	s_delay_alu instid0(VALU_DEP_2)
	v_cmpx_ne_u32_e32 0, v2
	s_xor_b32 s4, exec_lo, s4
	s_cbranch_execz .LBB6_98
; %bb.82:                               ;   in Loop: Header=BB6_63 Depth=2
	v_mad_u64_u32 v[18:19], null, v14, 24, v[6:7]
	v_ashrrev_i32_e32 v9, 31, v8
	s_mov_b32 s38, -1
	s_mov_b32 s39, exec_lo
	s_delay_alu instid0(VALU_DEP_1)
	v_lshlrev_b64 v[15:16], 3, v[8:9]
	flat_load_b32 v2, v[18:19]
	flat_store_b64 v[18:19], v[15:16] offset:8
                                        ; implicit-def: $vgpr16_vgpr17
	s_waitcnt vmcnt(0) lgkmcnt(1)
	v_cmpx_eq_u32_e32 1, v2
	s_cbranch_execz .LBB6_84
; %bb.83:                               ;   in Loop: Header=BB6_63 Depth=2
	flat_load_b32 v14, v[18:19] offset:4 glc
	s_xor_b32 s38, exec_lo, -1
	s_waitcnt vmcnt(0) lgkmcnt(0)
	v_ashrrev_i32_e32 v15, 31, v14
	s_delay_alu instid0(VALU_DEP_1)
	v_lshrrev_b64 v[16:17], 3, v[14:15]
                                        ; implicit-def: $vgpr14_vgpr15
.LBB6_84:                               ;   in Loop: Header=BB6_63 Depth=2
	s_or_b32 exec_lo, exec_lo, s39
	s_delay_alu instid0(SALU_CYCLE_1)
	s_and_b32 s38, s38, exec_lo
	s_and_not1_saveexec_b32 s4, s4
	s_cbranch_execnz .LBB6_99
.LBB6_85:                               ;   in Loop: Header=BB6_63 Depth=2
	s_or_b32 exec_lo, exec_lo, s4
	s_and_saveexec_b32 s4, s38
.LBB6_86:                               ;   in Loop: Header=BB6_63 Depth=2
	v_mul_lo_u32 v2, v3, v145
	v_mul_lo_u32 v9, v14, v146
	v_mad_u64_u32 v[16:17], null, v14, v145, 0
	s_delay_alu instid0(VALU_DEP_1)
	v_add3_u32 v17, v17, v9, v2
.LBB6_87:                               ;   in Loop: Header=BB6_63 Depth=2
	s_or_b32 exec_lo, exec_lo, s4
	s_delay_alu instid0(VALU_DEP_1) | instskip(SKIP_2) | instid1(VALU_DEP_2)
	v_lshlrev_b64 v[14:15], 3, v[16:17]
	v_and_b32_e32 v2, 0x2000, v30
	s_mov_b32 s4, exec_lo
	v_add_co_u32 v14, vcc_lo, v68, v14
	s_delay_alu instid0(VALU_DEP_3)
	v_add_co_ci_u32_e32 v15, vcc_lo, v69, v15, vcc_lo
	ds_store_b64 v0, v[14:15] offset:784
	v_cmpx_ne_u32_e32 0, v2
	s_cbranch_execz .LBB6_89
; %bb.88:                               ;   in Loop: Header=BB6_63 Depth=2
	ds_load_b64 v[14:15], v0 offset:584
	s_waitcnt lgkmcnt(0)
	v_add_co_u32 v14, vcc_lo, v14, 1
	v_add_co_ci_u32_e32 v15, vcc_lo, 0, v15, vcc_lo
	ds_store_b64 v0, v[14:15] offset:584
.LBB6_89:                               ;   in Loop: Header=BB6_63 Depth=2
	s_or_b32 exec_lo, exec_lo, s4
	v_add_co_u32 v66, vcc_lo, v66, 2
	v_add_co_ci_u32_e32 v67, vcc_lo, 0, v67, vcc_lo
.LBB6_90:                               ;   in Loop: Header=BB6_63 Depth=2
	s_or_b32 exec_lo, exec_lo, s2
	s_and_saveexec_b32 s2, s3
	s_cbranch_execz .LBB6_114
; %bb.91:                               ;   in Loop: Header=BB6_63 Depth=2
	s_and_saveexec_b32 s4, s41
	s_delay_alu instid0(SALU_CYCLE_1)
	s_xor_b32 s4, exec_lo, s4
	s_cbranch_execz .LBB6_111
; %bb.92:                               ;   in Loop: Header=BB6_63 Depth=2
	s_and_saveexec_b32 s38, s1
	s_cbranch_execz .LBB6_110
; %bb.93:                               ;   in Loop: Header=BB6_63 Depth=2
	s_mov_b32 s40, exec_lo
	s_mov_b32 s39, exec_lo
	v_mbcnt_lo_u32_b32 v2, s40, 0
	s_waitcnt lgkmcnt(0)
	s_waitcnt_vscnt null, 0x0
	buffer_gl1_inv
	buffer_gl0_inv
	v_cmpx_eq_u32_e32 0, v2
	s_cbranch_execz .LBB6_95
; %bb.94:                               ;   in Loop: Header=BB6_63 Depth=2
	s_bcnt1_i32_b32 vcc_lo, s40
	s_delay_alu instid0(SALU_CYCLE_1)
	v_mov_b32_e32 v2, vcc_lo
	ds_add_u64 v0, v[2:3]
	s_cbranch_execnz .LBB6_1560
.LBB6_95:                               ;   in Loop: Header=BB6_63 Depth=2
	s_or_b32 exec_lo, exec_lo, s39
	v_mov_b32_e32 v2, 1
	s_cbranch_execnz .LBB6_1540
; %bb.96:                               ;   in Loop: Header=BB6_63 Depth=2
	ds_load_b64 v[14:15], v0
	v_add_co_u32 v80, vcc_lo, v80, v147
	v_add_co_ci_u32_e32 v81, vcc_lo, 0, v81, vcc_lo
	s_mov_b32 s39, exec_lo
	s_waitcnt lgkmcnt(0)
	s_delay_alu instid0(VALU_DEP_1)
	v_cmpx_lt_u64_e64 v[14:15], v[80:81]
	s_cbranch_execz .LBB6_109
; %bb.97:                               ;   in Loop: Header=BB6_63 Depth=2
	s_mov_b32 s40, 0
	s_mov_b32 s44, 0
                                        ; implicit-def: $sgpr42
                                        ; implicit-def: $sgpr43
	s_branch .LBB6_101
.LBB6_98:                               ;   in Loop: Header=BB6_63 Depth=2
	s_and_not1_saveexec_b32 s4, s4
	s_cbranch_execz .LBB6_85
.LBB6_99:                               ;   in Loop: Header=BB6_63 Depth=2
	s_or_b32 s38, s38, exec_lo
                                        ; implicit-def: $vgpr16_vgpr17
	s_or_b32 exec_lo, exec_lo, s4
	s_and_saveexec_b32 s4, s38
	s_cbranch_execnz .LBB6_86
	s_branch .LBB6_87
.LBB6_100:                              ;   in Loop: Header=BB6_101 Depth=3
	s_or_b32 exec_lo, exec_lo, s46
	s_delay_alu instid0(SALU_CYCLE_1) | instskip(NEXT) | instid1(SALU_CYCLE_1)
	s_and_b32 vcc_lo, exec_lo, vcc_lo
	s_or_b32 s40, vcc_lo, s40
	s_and_not1_b32 vcc_lo, s42, exec_lo
	s_and_b32 s42, s43, exec_lo
	s_delay_alu instid0(SALU_CYCLE_1)
	s_or_b32 s42, vcc_lo, s42
	s_and_not1_b32 exec_lo, exec_lo, s40
	s_cbranch_execz .LBB6_107
.LBB6_101:                              ;   Parent Loop BB6_55 Depth=1
                                        ;     Parent Loop BB6_63 Depth=2
                                        ; =>    This Inner Loop Header: Depth=3
	s_add_i32 s44, s44, 1
                                        ; implicit-def: $sgpr46
	s_delay_alu instid0(SALU_CYCLE_1) | instskip(SKIP_1) | instid1(SALU_CYCLE_1)
	s_cmpk_lg_i32 s44, 0x2710
	s_cselect_b32 s45, -1, 0
	s_and_b32 vcc_lo, exec_lo, s45
	s_cbranch_vccz .LBB6_105
.LBB6_102:                              ;   in Loop: Header=BB6_101 Depth=3
	s_and_not1_b32 s43, s43, exec_lo
	s_and_b32 s46, s46, exec_lo
	s_mov_b32 vcc_lo, -1
	s_or_b32 s43, s43, s46
	s_and_saveexec_b32 s46, s45
	s_cbranch_execz .LBB6_100
; %bb.103:                              ;   in Loop: Header=BB6_101 Depth=3
	s_sleep 1
	s_cbranch_execnz .LBB6_1588
; %bb.104:                              ;   in Loop: Header=BB6_101 Depth=3
	ds_load_b64 v[14:15], v0
	s_and_not1_b32 s43, s43, exec_lo
	s_waitcnt lgkmcnt(0)
	v_cmp_ge_u64_e32 vcc_lo, v[14:15], v[80:81]
	s_or_not1_b32 vcc_lo, vcc_lo, exec_lo
	s_branch .LBB6_100
.LBB6_105:                              ;   in Loop: Header=BB6_101 Depth=3
	s_cbranch_execnz .LBB6_1594
; %bb.106:                              ;   in Loop: Header=BB6_101 Depth=3
	ds_load_b64 v[14:15], v0
	s_and_not1_b32 s45, s45, exec_lo
	s_mov_b32 s44, 0
	s_mov_b32 s46, -1
	s_waitcnt lgkmcnt(0)
	flat_load_b32 v9, v[14:15] glc
	s_waitcnt vmcnt(0) lgkmcnt(0)
	buffer_gl1_inv
	buffer_gl0_inv
	v_cmp_eq_u32_e32 vcc_lo, 0, v9
	s_and_b32 vcc_lo, vcc_lo, exec_lo
	s_delay_alu instid0(SALU_CYCLE_1)
	s_or_b32 s45, s45, vcc_lo
	s_branch .LBB6_102
.LBB6_107:                              ;   in Loop: Header=BB6_63 Depth=2
	s_or_b32 exec_lo, exec_lo, s40
	s_and_saveexec_b32 vcc_lo, s42
	s_delay_alu instid0(SALU_CYCLE_1)
	s_xor_b32 vcc_lo, exec_lo, vcc_lo
	s_cbranch_execz .LBB6_109
; %bb.108:                              ;   in Loop: Header=BB6_63 Depth=2
	ds_store_b32 v0, v2
	s_cbranch_execnz .LBB6_1808
.LBB6_109:                              ;   in Loop: Header=BB6_63 Depth=2
	s_or_b32 exec_lo, exec_lo, s39
	v_mov_b32_e32 v21, 1
	;;#ASMSTART
	s_wakeup
	;;#ASMEND
.LBB6_110:                              ;   in Loop: Header=BB6_63 Depth=2
	s_or_b32 exec_lo, exec_lo, s38
.LBB6_111:                              ;   in Loop: Header=BB6_63 Depth=2
	s_and_not1_saveexec_b32 s4, s4
	s_cbranch_execz .LBB6_113
; %bb.112:                              ;   in Loop: Header=BB6_63 Depth=2
	s_waitcnt lgkmcnt(0)
	s_waitcnt_vscnt null, 0x0
	buffer_gl1_inv
	buffer_gl0_inv
	s_barrier
.LBB6_113:                              ;   in Loop: Header=BB6_63 Depth=2
	s_or_b32 exec_lo, exec_lo, s4
.LBB6_114:                              ;   in Loop: Header=BB6_63 Depth=2
	s_delay_alu instid0(SALU_CYCLE_1)
	s_or_b32 exec_lo, exec_lo, s2
	s_cbranch_execnz .LBB6_1491
; %bb.115:                              ;   in Loop: Header=BB6_63 Depth=2
	ds_load_b32 v11, v0
	v_and_b32_e32 v2, 0x4000, v30
	v_readlane_b32 s2, v74, 0
	s_delay_alu instid0(VALU_DEP_2) | instskip(NEXT) | instid1(VALU_DEP_2)
	v_cmp_ne_u32_e32 vcc_lo, 0, v2
	s_xor_b32 s2, s2, -1
	s_delay_alu instid0(SALU_CYCLE_1) | instskip(NEXT) | instid1(SALU_CYCLE_1)
	s_and_b32 s4, s2, vcc_lo
	s_and_saveexec_b32 s2, s4
	s_cbranch_execz .LBB6_137
; %bb.116:                              ;   in Loop: Header=BB6_63 Depth=2
	s_and_saveexec_b32 s4, s41
	s_delay_alu instid0(SALU_CYCLE_1)
	s_xor_b32 s4, exec_lo, s4
	s_cbranch_execz .LBB6_134
; %bb.117:                              ;   in Loop: Header=BB6_63 Depth=2
	s_and_saveexec_b32 s38, s1
	s_cbranch_execz .LBB6_133
; %bb.118:                              ;   in Loop: Header=BB6_63 Depth=2
	s_mov_b32 s40, exec_lo
	v_mov_b32_e32 v9, 1
	v_mbcnt_lo_u32_b32 v2, s40, 0
	s_mov_b32 s39, exec_lo
	s_waitcnt lgkmcnt(0)
	s_waitcnt_vscnt null, 0x0
	buffer_gl1_inv
	buffer_gl0_inv
	v_cmpx_eq_u32_e32 0, v2
	s_cbranch_execz .LBB6_120
; %bb.119:                              ;   in Loop: Header=BB6_63 Depth=2
	s_bcnt1_i32_b32 vcc_lo, s40
	s_delay_alu instid0(SALU_CYCLE_1)
	v_mov_b32_e32 v2, vcc_lo
	ds_add_u64 v0, v[2:3]
	s_cbranch_execnz .LBB6_1586
.LBB6_120:                              ;   in Loop: Header=BB6_63 Depth=2
	s_or_b32 exec_lo, exec_lo, s39
	s_cbranch_execnz .LBB6_1574
; %bb.121:                              ;   in Loop: Header=BB6_63 Depth=2
	ds_load_b64 v[14:15], v0
	v_add_co_u32 v80, vcc_lo, v80, v147
	v_add_co_ci_u32_e32 v81, vcc_lo, 0, v81, vcc_lo
	s_mov_b32 s39, exec_lo
	s_waitcnt lgkmcnt(0)
	s_delay_alu instid0(VALU_DEP_1)
	v_cmpx_lt_u64_e64 v[14:15], v[80:81]
	s_cbranch_execz .LBB6_132
; %bb.122:                              ;   in Loop: Header=BB6_63 Depth=2
	s_mov_b32 s40, 0
	s_mov_b32 s44, 0
                                        ; implicit-def: $sgpr42
                                        ; implicit-def: $sgpr43
	s_branch .LBB6_124
.LBB6_123:                              ;   in Loop: Header=BB6_124 Depth=3
	s_or_b32 exec_lo, exec_lo, s46
	s_delay_alu instid0(SALU_CYCLE_1) | instskip(NEXT) | instid1(SALU_CYCLE_1)
	s_and_b32 vcc_lo, exec_lo, vcc_lo
	s_or_b32 s40, vcc_lo, s40
	s_and_not1_b32 vcc_lo, s42, exec_lo
	s_and_b32 s42, s43, exec_lo
	s_delay_alu instid0(SALU_CYCLE_1)
	s_or_b32 s42, vcc_lo, s42
	s_and_not1_b32 exec_lo, exec_lo, s40
	s_cbranch_execz .LBB6_130
.LBB6_124:                              ;   Parent Loop BB6_55 Depth=1
                                        ;     Parent Loop BB6_63 Depth=2
                                        ; =>    This Inner Loop Header: Depth=3
	s_add_i32 s44, s44, 1
                                        ; implicit-def: $sgpr46
	s_delay_alu instid0(SALU_CYCLE_1) | instskip(SKIP_1) | instid1(SALU_CYCLE_1)
	s_cmpk_lg_i32 s44, 0x2710
	s_cselect_b32 s45, -1, 0
	s_and_b32 vcc_lo, exec_lo, s45
	s_cbranch_vccz .LBB6_128
.LBB6_125:                              ;   in Loop: Header=BB6_124 Depth=3
	s_and_not1_b32 s43, s43, exec_lo
	s_and_b32 s46, s46, exec_lo
	s_mov_b32 vcc_lo, -1
	s_or_b32 s43, s43, s46
	s_and_saveexec_b32 s46, s45
	s_cbranch_execz .LBB6_123
; %bb.126:                              ;   in Loop: Header=BB6_124 Depth=3
	s_sleep 1
	s_cbranch_execnz .LBB6_1626
; %bb.127:                              ;   in Loop: Header=BB6_124 Depth=3
	ds_load_b64 v[14:15], v0
	s_and_not1_b32 s43, s43, exec_lo
	s_waitcnt lgkmcnt(0)
	v_cmp_ge_u64_e32 vcc_lo, v[14:15], v[80:81]
	s_or_not1_b32 vcc_lo, vcc_lo, exec_lo
	s_branch .LBB6_123
.LBB6_128:                              ;   in Loop: Header=BB6_124 Depth=3
	s_cbranch_execnz .LBB6_1644
; %bb.129:                              ;   in Loop: Header=BB6_124 Depth=3
	ds_load_b64 v[14:15], v0
	s_and_not1_b32 s45, s45, exec_lo
	s_mov_b32 s44, 0
	s_mov_b32 s46, -1
	s_waitcnt lgkmcnt(0)
	flat_load_b32 v2, v[14:15] glc
	s_waitcnt vmcnt(0) lgkmcnt(0)
	buffer_gl1_inv
	buffer_gl0_inv
	v_cmp_eq_u32_e32 vcc_lo, 0, v2
	s_and_b32 vcc_lo, vcc_lo, exec_lo
	s_delay_alu instid0(SALU_CYCLE_1)
	s_or_b32 s45, s45, vcc_lo
	s_branch .LBB6_125
.LBB6_130:                              ;   in Loop: Header=BB6_63 Depth=2
	s_or_b32 exec_lo, exec_lo, s40
	s_and_saveexec_b32 vcc_lo, s42
	s_delay_alu instid0(SALU_CYCLE_1)
	s_xor_b32 vcc_lo, exec_lo, vcc_lo
	s_cbranch_execz .LBB6_132
; %bb.131:                              ;   in Loop: Header=BB6_63 Depth=2
	ds_store_b32 v0, v9
	s_cbranch_execnz .LBB6_1858
.LBB6_132:                              ;   in Loop: Header=BB6_63 Depth=2
	s_or_b32 exec_lo, exec_lo, s39
	v_mov_b32_e32 v21, 1
	;;#ASMSTART
	s_wakeup
	;;#ASMEND
.LBB6_133:                              ;   in Loop: Header=BB6_63 Depth=2
	s_or_b32 exec_lo, exec_lo, s38
.LBB6_134:                              ;   in Loop: Header=BB6_63 Depth=2
	s_and_not1_saveexec_b32 s4, s4
	s_cbranch_execz .LBB6_136
; %bb.135:                              ;   in Loop: Header=BB6_63 Depth=2
	s_waitcnt lgkmcnt(0)
	s_waitcnt_vscnt null, 0x0
	buffer_gl1_inv
	buffer_gl0_inv
	s_barrier
.LBB6_136:                              ;   in Loop: Header=BB6_63 Depth=2
	s_or_b32 exec_lo, exec_lo, s4
.LBB6_137:                              ;   in Loop: Header=BB6_63 Depth=2
	s_delay_alu instid0(SALU_CYCLE_1)
	s_or_b32 exec_lo, exec_lo, s2
	s_cbranch_execnz .LBB6_1517
; %bb.138:                              ;   in Loop: Header=BB6_63 Depth=2
	ds_load_b64 v[14:15], v0
	v_mov_b32_e32 v9, 0
	s_waitcnt lgkmcnt(0)
	v_cmp_eq_u64_e32 vcc_lo, 0, v[14:15]
	s_or_b32 s2, vcc_lo, vcc_lo
	s_delay_alu instid0(SALU_CYCLE_1)
	s_and_b32 vcc_lo, exec_lo, s2
	s_cbranch_vccnz .LBB6_173
; %bb.139:                              ;   in Loop: Header=BB6_63 Depth=2
	s_mov_b32 s2, s13
	s_mov_b32 s4, s10
	;; [unrolled: 1-line block ×6, first 2 shown]
	s_mov_b32 s13, -1
	s_mov_b32 s39, s25
	s_and_saveexec_b32 s14, s25
	s_cbranch_execz .LBB6_141
; %bb.140:                              ;   in Loop: Header=BB6_63 Depth=2
	ds_load_b32 v2, v0 offset:720
	s_waitcnt lgkmcnt(0)
	v_and_b32_e32 v2, 15, v2
	s_delay_alu instid0(VALU_DEP_1)
	v_cmp_eq_u32_e32 vcc_lo, 0, v2
	s_or_not1_b32 s13, vcc_lo, exec_lo
.LBB6_141:                              ;   in Loop: Header=BB6_63 Depth=2
	s_or_b32 exec_lo, exec_lo, s14
	s_mov_b32 s40, s5
	s_and_saveexec_b32 s14, s5
	s_cbranch_execz .LBB6_143
; %bb.142:                              ;   in Loop: Header=BB6_63 Depth=2
	ds_load_b32 v2, v0 offset:784
	s_waitcnt lgkmcnt(0)
	v_and_b32_e32 v2, 15, v2
	s_delay_alu instid0(VALU_DEP_1) | instskip(SKIP_3) | instid1(SALU_CYCLE_1)
	v_cmp_eq_u32_e32 vcc_lo, 0, v2
	s_and_b32 s5, s13, vcc_lo
	s_and_not1_b32 s13, s13, exec_lo
	s_and_b32 s5, s5, exec_lo
	s_or_b32 s13, s13, s5
.LBB6_143:                              ;   in Loop: Header=BB6_63 Depth=2
	s_or_b32 exec_lo, exec_lo, s14
	v_cmp_eq_u32_e32 vcc_lo, 0, v11
	s_xor_b32 s5, s13, -1
	s_mov_b32 s13, -1
	v_cndmask_b32_e64 v2, 0, 1, s5
	;;#ASMSTART
	;;#ASMEND
	v_cndmask_b32_e32 v9, 0, v8, vcc_lo
	s_delay_alu instid0(VALU_DEP_2) | instskip(NEXT) | instid1(VALU_DEP_2)
	v_cmp_ne_u32_e32 vcc_lo, 0, v2
	v_dual_mov_b32 v11, 0 :: v_dual_lshlrev_b32 v2, 3, v9
	s_cbranch_vccz .LBB6_145
; %bb.144:                              ;   in Loop: Header=BB6_63 Depth=2
	v_mov_b32_e32 v18, v0
	v_mov_b32_e32 v22, v148
	s_branch .LBB6_160
.LBB6_145:                              ;   in Loop: Header=BB6_63 Depth=2
	s_delay_alu instid0(VALU_DEP_1) | instskip(SKIP_1) | instid1(VALU_DEP_1)
	v_ashrrev_i32_e32 v11, 31, v2
	s_mov_b32 s5, exec_lo
	v_lshrrev_b32_e32 v11, 20, v11
	s_delay_alu instid0(VALU_DEP_1) | instskip(NEXT) | instid1(VALU_DEP_1)
	v_add_nc_u32_e32 v11, v2, v11
	v_ashrrev_i32_e32 v11, 12, v11
	s_delay_alu instid0(VALU_DEP_1) | instskip(NEXT) | instid1(VALU_DEP_1)
	v_sub_nc_u32_e32 v19, v11, v148
	v_cmpx_lt_i32_e32 0, v19
	s_cbranch_execz .LBB6_150
; %bb.146:                              ;   in Loop: Header=BB6_63 Depth=2
	s_cbranch_execnz .LBB6_1598
; %bb.147:                              ;   in Loop: Header=BB6_63 Depth=2
	ds_load_b64 v[14:15], v0
	s_mov_b32 s13, 0
	s_waitcnt lgkmcnt(0)
	v_dual_mov_b32 v17, v15 :: v_dual_mov_b32 v16, v14
.LBB6_148:                              ;   Parent Loop BB6_55 Depth=1
                                        ;     Parent Loop BB6_63 Depth=2
                                        ; =>    This Inner Loop Header: Depth=3
	s_delay_alu instid0(VALU_DEP_1) | instskip(NEXT) | instid1(VALU_DEP_2)
	v_add_co_u32 v25, vcc_lo, v150, v16
	v_add_co_ci_u32_e32 v26, vcc_lo, v160, v17, vcc_lo
	v_sub_nc_u32_e32 v19, v19, v147
	s_clause 0x7
	global_load_b128 v[21:24], v[25:26], off slc dlc
	global_load_b128 v[32:35], v[25:26], off offset:512 slc dlc
	global_load_b128 v[36:39], v[25:26], off offset:1024 slc dlc
	global_load_b128 v[48:51], v[25:26], off offset:1536 slc dlc
	global_load_b128 v[112:115], v[25:26], off offset:2048 slc dlc
	global_load_b128 v[128:131], v[25:26], off offset:2560 slc dlc
	global_load_b128 v[132:135], v[25:26], off offset:3072 slc dlc
	global_load_b128 v[41:44], v[25:26], off offset:3584 slc dlc
	v_add_co_u32 v25, vcc_lo, v150, v14
	v_add_co_ci_u32_e32 v26, vcc_lo, v160, v15, vcc_lo
	v_add_co_u32 v16, vcc_lo, v16, v162
	v_add_co_ci_u32_e32 v17, vcc_lo, v17, v163, vcc_lo
	;; [unrolled: 2-line block ×3, first 2 shown]
	v_cmp_gt_i32_e32 vcc_lo, 1, v19
	s_waitcnt vmcnt(7)
	global_store_b128 v[25:26], v[21:24], off glc slc dlc
	s_waitcnt vmcnt(6)
	global_store_b128 v[25:26], v[32:35], off offset:512 glc slc dlc
	s_waitcnt vmcnt(5)
	global_store_b128 v[25:26], v[36:39], off offset:1024 glc slc dlc
	;; [unrolled: 2-line block ×7, first 2 shown]
	s_or_b32 s13, vcc_lo, s13
	s_delay_alu instid0(SALU_CYCLE_1)
	s_and_not1_b32 exec_lo, exec_lo, s13
	s_cbranch_execnz .LBB6_148
; %bb.149:                              ;   in Loop: Header=BB6_63 Depth=2
	s_or_b32 exec_lo, exec_lo, s13
.LBB6_150:                              ;   in Loop: Header=BB6_63 Depth=2
	s_delay_alu instid0(SALU_CYCLE_1) | instskip(SKIP_3) | instid1(VALU_DEP_1)
	s_or_b32 exec_lo, exec_lo, s5
	v_dual_mov_b32 v11, 0 :: v_dual_lshlrev_b32 v16, 12, v11
	s_mov_b32 s13, 0
	s_mov_b32 s5, exec_lo
                                        ; implicit-def: $vgpr18
                                        ; implicit-def: $vgpr22
	v_cmpx_ne_u32_e64 v2, v16
	s_cbranch_execz .LBB6_159
; %bb.151:                              ;   in Loop: Header=BB6_63 Depth=2
	v_lshlrev_b32_e32 v11, 5, v19
	v_sub_nc_u32_e32 v15, v2, v16
	s_mov_b32 s25, exec_lo
	s_delay_alu instid0(VALU_DEP_2) | instskip(NEXT) | instid1(VALU_DEP_2)
	v_sub_nc_u32_e32 v11, v149, v11
	v_ashrrev_i32_e32 v17, 31, v15
	s_delay_alu instid0(VALU_DEP_2) | instskip(NEXT) | instid1(VALU_DEP_2)
	v_ashrrev_i32_e32 v14, 31, v11
	v_lshrrev_b32_e32 v17, 23, v17
	s_delay_alu instid0(VALU_DEP_2) | instskip(NEXT) | instid1(VALU_DEP_2)
	v_lshrrev_b32_e32 v14, 27, v14
	v_add_nc_u32_e32 v22, v15, v17
	s_delay_alu instid0(VALU_DEP_2) | instskip(NEXT) | instid1(VALU_DEP_2)
	v_add_nc_u32_e32 v14, v11, v14
	v_and_b32_e32 v17, 0xfffffe00, v22
	v_ashrrev_i32_e32 v22, 9, v22
	s_delay_alu instid0(VALU_DEP_3) | instskip(NEXT) | instid1(VALU_DEP_3)
	v_and_b32_e32 v18, 0xffffffe0, v14
	v_sub_nc_u32_e32 v21, v15, v17
	v_ashrrev_i32_e32 v14, 5, v14
	s_delay_alu instid0(VALU_DEP_3) | instskip(NEXT) | instid1(VALU_DEP_3)
	v_sub_nc_u32_e32 v19, v11, v18
	v_cmp_lt_i32_e32 vcc_lo, 15, v21
	s_delay_alu instid0(VALU_DEP_2) | instskip(SKIP_1) | instid1(VALU_DEP_2)
	v_lshlrev_b32_e32 v11, 4, v19
	v_add_co_ci_u32_e64 v22, s13, 0, v22, vcc_lo
	v_lshl_add_u32 v18, v14, 9, v11
	s_delay_alu instid0(VALU_DEP_2) | instskip(NEXT) | instid1(VALU_DEP_2)
	v_sub_nc_u32_e32 v23, v22, v14
	v_sub_nc_u32_e32 v11, v15, v18
	s_delay_alu instid0(VALU_DEP_1)
	v_cmpx_lt_i32_e32 15, v11
	s_cbranch_execz .LBB6_156
; %bb.152:                              ;   in Loop: Header=BB6_63 Depth=2
	s_cbranch_execnz .LBB6_1662
; %bb.153:                              ;   in Loop: Header=BB6_63 Depth=2
	ds_load_b64 v[14:15], v0
	v_add_nc_u32_e32 v18, v18, v16
	s_mov_b32 s37, 0
	s_delay_alu instid0(VALU_DEP_1)
	v_ashrrev_i32_e32 v22, 31, v18
.LBB6_154:                              ;   Parent Loop BB6_55 Depth=1
                                        ;     Parent Loop BB6_63 Depth=2
                                        ; =>    This Inner Loop Header: Depth=3
	s_waitcnt lgkmcnt(0)
	v_add_co_u32 v32, s13, v14, v18
	s_delay_alu instid0(VALU_DEP_1)
	v_add_co_ci_u32_e64 v33, s13, v15, v22, s13
	v_sub_nc_u32_e32 v11, v11, v151
	v_add_co_u32 v18, s14, v18, v166
	global_load_b128 v[24:27], v[32:33], off slc dlc
	v_sub_nc_u32_e32 v23, v23, v147
	v_cmp_gt_i32_e64 s13, 16, v11
	v_add_co_ci_u32_e64 v22, s14, v22, v167, s14
	s_delay_alu instid0(VALU_DEP_2)
	s_or_b32 s37, s13, s37
	s_waitcnt vmcnt(0)
	global_store_b128 v[32:33], v[24:27], off glc slc dlc
	s_and_not1_b32 exec_lo, exec_lo, s37
	s_cbranch_execnz .LBB6_154
; %bb.155:                              ;   in Loop: Header=BB6_63 Depth=2
	s_or_b32 exec_lo, exec_lo, s37
.LBB6_156:                              ;   in Loop: Header=BB6_63 Depth=2
	s_delay_alu instid0(SALU_CYCLE_1) | instskip(SKIP_3) | instid1(VALU_DEP_1)
	s_or_b32 exec_lo, exec_lo, s25
	v_dual_mov_b32 v11, 0 :: v_dual_and_b32 v14, 8, v2
	s_mov_b32 s14, 0
	s_mov_b32 s25, exec_lo
                                        ; implicit-def: $vgpr18
                                        ; implicit-def: $vgpr22
	v_cndmask_b32_e32 v2, v21, v14, vcc_lo
	s_delay_alu instid0(VALU_DEP_1)
	v_cmpx_ne_u32_e32 0, v2
; %bb.157:                              ;   in Loop: Header=BB6_63 Depth=2
	v_cmp_lt_i32_e64 s13, 0, v23
	v_sub_nc_u32_e32 v14, v21, v14
	s_mov_b32 s14, exec_lo
	s_delay_alu instid0(VALU_DEP_2) | instskip(NEXT) | instid1(VALU_DEP_1)
	v_cndmask_b32_e64 v11, 0, v147, s13
	v_sub_nc_u32_e32 v11, v11, v23
	s_delay_alu instid0(VALU_DEP_1) | instskip(NEXT) | instid1(VALU_DEP_1)
	v_lshl_add_u32 v18, v11, 5, v19
	v_ashrrev_i32_e32 v11, 31, v18
	s_delay_alu instid0(VALU_DEP_1) | instskip(NEXT) | instid1(VALU_DEP_1)
	v_lshrrev_b32_e32 v11, 27, v11
	v_dual_cndmask_b32 v14, 0, v14 :: v_dual_add_nc_u32 v15, v18, v11
	s_delay_alu instid0(VALU_DEP_1) | instskip(NEXT) | instid1(VALU_DEP_2)
	v_add3_u32 v11, v17, v16, v14
	v_ashrrev_i32_e32 v22, 5, v15
; %bb.158:                              ;   in Loop: Header=BB6_63 Depth=2
	s_or_b32 exec_lo, exec_lo, s25
	s_delay_alu instid0(SALU_CYCLE_1)
	s_and_b32 s13, s14, exec_lo
.LBB6_159:                              ;   in Loop: Header=BB6_63 Depth=2
	s_or_b32 exec_lo, exec_lo, s5
.LBB6_160:                              ;   in Loop: Header=BB6_63 Depth=2
	s_and_saveexec_b32 s5, s13
	s_cbranch_execz .LBB6_172
; %bb.161:                              ;   in Loop: Header=BB6_63 Depth=2
	v_ashrrev_i32_e32 v14, 31, v2
	s_mov_b32 s14, exec_lo
	s_delay_alu instid0(VALU_DEP_1) | instskip(NEXT) | instid1(VALU_DEP_1)
	v_lshrrev_b32_e32 v14, 22, v14
	v_add_nc_u32_e32 v14, v2, v14
	s_delay_alu instid0(VALU_DEP_1) | instskip(NEXT) | instid1(VALU_DEP_1)
	v_ashrrev_i32_e32 v21, 10, v14
	v_sub_nc_u32_e32 v19, v21, v22
	s_delay_alu instid0(VALU_DEP_1)
	v_cmpx_lt_i32_e32 0, v19
	s_cbranch_execz .LBB6_166
; %bb.162:                              ;   in Loop: Header=BB6_63 Depth=2
	s_cbranch_execnz .LBB6_1592
; %bb.163:                              ;   in Loop: Header=BB6_63 Depth=2
	v_ashrrev_i32_e32 v14, 31, v18
	s_mov_b32 s25, 0
	s_delay_alu instid0(VALU_DEP_1) | instskip(NEXT) | instid1(VALU_DEP_1)
	v_lshrrev_b32_e32 v14, 27, v14
	v_add_nc_u32_e32 v14, v18, v14
	s_delay_alu instid0(VALU_DEP_1) | instskip(SKIP_3) | instid1(VALU_DEP_1)
	v_and_b32_e32 v16, 0x1fffffe0, v14
	ds_load_b64 v[14:15], v0
	v_lshlrev_b32_e32 v17, 10, v22
	v_sub_nc_u32_e32 v16, v18, v16
	v_lshlrev_b32_e32 v16, 3, v16
	s_delay_alu instid0(VALU_DEP_1) | instskip(NEXT) | instid1(VALU_DEP_1)
	v_add3_u32 v22, v16, v11, v17
	v_ashrrev_i32_e32 v23, 31, v22
	s_waitcnt lgkmcnt(0)
	v_dual_mov_b32 v17, v15 :: v_dual_mov_b32 v16, v14
	s_set_inst_prefetch_distance 0x1
.LBB6_164:                              ;   Parent Loop BB6_55 Depth=1
                                        ;     Parent Loop BB6_63 Depth=2
                                        ; =>    This Inner Loop Header: Depth=3
	s_delay_alu instid0(VALU_DEP_1) | instskip(NEXT) | instid1(VALU_DEP_2)
	v_add_co_u32 v24, vcc_lo, v22, v16
	v_add_co_ci_u32_e32 v25, vcc_lo, v23, v17, vcc_lo
	v_add_co_u32 v36, vcc_lo, v22, v14
	v_sub_nc_u32_e32 v19, v19, v147
	s_clause 0x3
	flat_load_b64 v[26:27], v[24:25] slc dlc
	flat_load_b64 v[32:33], v[24:25] offset:256 slc dlc
	flat_load_b64 v[34:35], v[24:25] offset:512 slc dlc
	;; [unrolled: 1-line block ×3, first 2 shown]
	v_add_co_ci_u32_e32 v37, vcc_lo, v23, v15, vcc_lo
	v_add_co_u32 v16, vcc_lo, v16, v177
	v_add_co_ci_u32_e32 v17, vcc_lo, v17, v178, vcc_lo
	v_add_co_u32 v14, vcc_lo, v14, v177
	v_cmp_gt_i32_e64 s13, 1, v19
	v_add_co_ci_u32_e32 v15, vcc_lo, v15, v178, vcc_lo
	s_waitcnt vmcnt(3) lgkmcnt(3)
	flat_store_b64 v[36:37], v[26:27] glc slc dlc
	s_waitcnt vmcnt(2) lgkmcnt(3)
	flat_store_b64 v[36:37], v[32:33] offset:256 glc slc dlc
	s_waitcnt vmcnt(1) lgkmcnt(3)
	flat_store_b64 v[36:37], v[34:35] offset:512 glc slc dlc
	;; [unrolled: 2-line block ×3, first 2 shown]
	s_or_b32 s25, s13, s25
	s_delay_alu instid0(SALU_CYCLE_1)
	s_and_not1_b32 exec_lo, exec_lo, s25
	s_cbranch_execnz .LBB6_164
; %bb.165:                              ;   in Loop: Header=BB6_63 Depth=2
	s_set_inst_prefetch_distance 0x2
	s_or_b32 exec_lo, exec_lo, s25
.LBB6_166:                              ;   in Loop: Header=BB6_63 Depth=2
	s_delay_alu instid0(SALU_CYCLE_1) | instskip(SKIP_2) | instid1(VALU_DEP_1)
	s_or_b32 exec_lo, exec_lo, s14
	v_lshlrev_b32_e32 v14, 10, v21
	s_mov_b32 s14, exec_lo
	v_cmpx_ne_u32_e64 v2, v14
	s_cbranch_execz .LBB6_171
; %bb.167:                              ;   in Loop: Header=BB6_63 Depth=2
	v_ashrrev_i32_e32 v15, 31, v18
	v_lshlrev_b32_e32 v16, 5, v19
	s_delay_alu instid0(VALU_DEP_2) | instskip(NEXT) | instid1(VALU_DEP_1)
	v_lshrrev_b32_e32 v15, 27, v15
	v_add_nc_u32_e32 v15, v18, v15
	s_delay_alu instid0(VALU_DEP_1) | instskip(NEXT) | instid1(VALU_DEP_1)
	v_and_b32_e32 v15, 0xffffffe0, v15
	v_sub_nc_u32_e32 v15, v18, v15
	s_delay_alu instid0(VALU_DEP_1) | instskip(NEXT) | instid1(VALU_DEP_1)
	v_sub_nc_u32_e32 v15, v15, v16
	v_ashrrev_i32_e32 v16, 31, v15
	s_delay_alu instid0(VALU_DEP_1) | instskip(NEXT) | instid1(VALU_DEP_1)
	v_lshrrev_b32_e32 v16, 27, v16
	v_add_nc_u32_e32 v16, v15, v16
	s_delay_alu instid0(VALU_DEP_1) | instskip(SKIP_1) | instid1(VALU_DEP_2)
	v_and_b32_e32 v17, 0x1fffffe0, v16
	v_lshlrev_b32_e32 v16, 3, v16
	v_sub_nc_u32_e32 v15, v15, v17
	s_delay_alu instid0(VALU_DEP_2) | instskip(NEXT) | instid1(VALU_DEP_2)
	v_and_b32_e32 v16, 0xffffff00, v16
	v_lshlrev_b32_e32 v15, 3, v15
	s_delay_alu instid0(VALU_DEP_1) | instskip(NEXT) | instid1(VALU_DEP_1)
	v_add3_u32 v16, v16, v15, v14
	v_sub_nc_u32_e32 v2, v2, v16
	s_delay_alu instid0(VALU_DEP_1)
	v_cmp_lt_i32_e32 vcc_lo, 7, v2
	s_and_b32 exec_lo, exec_lo, vcc_lo
	s_cbranch_execz .LBB6_171
; %bb.168:                              ;   in Loop: Header=BB6_63 Depth=2
	s_cbranch_execnz .LBB6_1654
; %bb.169:                              ;   in Loop: Header=BB6_63 Depth=2
	ds_load_b64 v[14:15], v0
	v_add_nc_u32_e32 v11, v16, v11
	s_mov_b32 s25, 0
	s_delay_alu instid0(VALU_DEP_1)
	v_ashrrev_i32_e32 v16, 31, v11
.LBB6_170:                              ;   Parent Loop BB6_55 Depth=1
                                        ;     Parent Loop BB6_63 Depth=2
                                        ; =>    This Inner Loop Header: Depth=3
	s_waitcnt lgkmcnt(0)
	v_add_co_u32 v17, vcc_lo, v14, v11
	s_delay_alu instid0(VALU_DEP_2)
	v_add_co_ci_u32_e32 v18, vcc_lo, v15, v16, vcc_lo
	v_sub_nc_u32_e32 v2, v2, v165
	v_add_co_u32 v11, s13, v11, v180
	flat_load_b64 v[21:22], v[17:18] slc dlc
	v_add_co_ci_u32_e64 v16, s13, v16, v181, s13
	v_cmp_gt_i32_e32 vcc_lo, 8, v2
	s_or_b32 s25, vcc_lo, s25
	s_waitcnt vmcnt(0) lgkmcnt(0)
	flat_store_b64 v[17:18], v[21:22] glc slc dlc
	s_and_not1_b32 exec_lo, exec_lo, s25
	s_cbranch_execnz .LBB6_170
.LBB6_171:                              ;   in Loop: Header=BB6_63 Depth=2
	s_or_b32 exec_lo, exec_lo, s14
.LBB6_172:                              ;   in Loop: Header=BB6_63 Depth=2
	s_delay_alu instid0(SALU_CYCLE_1)
	s_or_b32 exec_lo, exec_lo, s5
	v_mov_b32_e32 v21, 1
	s_mov_b32 s14, s6
	s_mov_b32 s37, s16
	;; [unrolled: 1-line block ×8, first 2 shown]
.LBB6_173:                              ;   in Loop: Header=BB6_63 Depth=2
	s_and_saveexec_b32 s2, s3
	s_cbranch_execz .LBB6_195
; %bb.174:                              ;   in Loop: Header=BB6_63 Depth=2
	v_mov_b32_e32 v11, 1
	s_mov_b32 s4, s25
	s_mov_b32 s25, s37
	s_and_saveexec_b32 vcc_lo, s41
	s_delay_alu instid0(SALU_CYCLE_1)
	s_xor_b32 s37, exec_lo, vcc_lo
	s_cbranch_execz .LBB6_192
; %bb.175:                              ;   in Loop: Header=BB6_63 Depth=2
	s_and_saveexec_b32 s38, s1
	s_cbranch_execz .LBB6_191
; %bb.176:                              ;   in Loop: Header=BB6_63 Depth=2
	s_mov_b32 s40, exec_lo
	s_mov_b32 s39, exec_lo
	v_mbcnt_lo_u32_b32 v2, s40, 0
	s_waitcnt lgkmcnt(0)
	s_waitcnt_vscnt null, 0x0
	buffer_gl1_inv
	buffer_gl0_inv
	v_cmpx_eq_u32_e32 0, v2
	s_cbranch_execz .LBB6_178
; %bb.177:                              ;   in Loop: Header=BB6_63 Depth=2
	s_bcnt1_i32_b32 vcc_lo, s40
	s_delay_alu instid0(SALU_CYCLE_1)
	v_mov_b32_e32 v2, vcc_lo
	ds_add_u64 v0, v[2:3]
	s_cbranch_execnz .LBB6_1628
.LBB6_178:                              ;   in Loop: Header=BB6_63 Depth=2
	s_or_b32 exec_lo, exec_lo, s39
	s_cbranch_execnz .LBB6_1606
; %bb.179:                              ;   in Loop: Header=BB6_63 Depth=2
	ds_load_b64 v[14:15], v0
	v_add_co_u32 v80, vcc_lo, v80, v147
	v_add_co_ci_u32_e32 v81, vcc_lo, 0, v81, vcc_lo
	s_mov_b32 s39, exec_lo
	s_waitcnt lgkmcnt(0)
	s_delay_alu instid0(VALU_DEP_1)
	v_cmpx_lt_u64_e64 v[14:15], v[80:81]
	s_cbranch_execz .LBB6_190
; %bb.180:                              ;   in Loop: Header=BB6_63 Depth=2
	s_mov_b32 s40, 0
	s_mov_b32 s44, 0
                                        ; implicit-def: $sgpr42
                                        ; implicit-def: $sgpr43
	s_branch .LBB6_182
.LBB6_181:                              ;   in Loop: Header=BB6_182 Depth=3
	s_or_b32 exec_lo, exec_lo, s46
	s_delay_alu instid0(SALU_CYCLE_1) | instskip(NEXT) | instid1(SALU_CYCLE_1)
	s_and_b32 vcc_lo, exec_lo, vcc_lo
	s_or_b32 s40, vcc_lo, s40
	s_and_not1_b32 vcc_lo, s42, exec_lo
	s_and_b32 s42, s43, exec_lo
	s_delay_alu instid0(SALU_CYCLE_1)
	s_or_b32 s42, vcc_lo, s42
	s_and_not1_b32 exec_lo, exec_lo, s40
	s_cbranch_execz .LBB6_188
.LBB6_182:                              ;   Parent Loop BB6_55 Depth=1
                                        ;     Parent Loop BB6_63 Depth=2
                                        ; =>    This Inner Loop Header: Depth=3
	s_add_i32 s44, s44, 1
                                        ; implicit-def: $sgpr46
	s_delay_alu instid0(SALU_CYCLE_1) | instskip(SKIP_1) | instid1(SALU_CYCLE_1)
	s_cmpk_lg_i32 s44, 0x2710
	s_cselect_b32 s45, -1, 0
	s_and_b32 vcc_lo, exec_lo, s45
	s_cbranch_vccz .LBB6_186
.LBB6_183:                              ;   in Loop: Header=BB6_182 Depth=3
	s_and_not1_b32 s43, s43, exec_lo
	s_and_b32 s46, s46, exec_lo
	s_mov_b32 vcc_lo, -1
	s_or_b32 s43, s43, s46
	s_and_saveexec_b32 s46, s45
	s_cbranch_execz .LBB6_181
; %bb.184:                              ;   in Loop: Header=BB6_182 Depth=3
	s_sleep 1
	s_cbranch_execnz .LBB6_1680
; %bb.185:                              ;   in Loop: Header=BB6_182 Depth=3
	ds_load_b64 v[14:15], v0
	s_and_not1_b32 s43, s43, exec_lo
	s_waitcnt lgkmcnt(0)
	v_cmp_ge_u64_e32 vcc_lo, v[14:15], v[80:81]
	s_or_not1_b32 vcc_lo, vcc_lo, exec_lo
	s_branch .LBB6_181
.LBB6_186:                              ;   in Loop: Header=BB6_182 Depth=3
	s_cbranch_execnz .LBB6_1690
; %bb.187:                              ;   in Loop: Header=BB6_182 Depth=3
	ds_load_b64 v[14:15], v0
	s_and_not1_b32 s45, s45, exec_lo
	s_mov_b32 s44, 0
	s_mov_b32 s46, -1
	s_waitcnt lgkmcnt(0)
	flat_load_b32 v2, v[14:15] glc
	s_waitcnt vmcnt(0) lgkmcnt(0)
	buffer_gl1_inv
	buffer_gl0_inv
	v_cmp_eq_u32_e32 vcc_lo, 0, v2
	s_and_b32 vcc_lo, vcc_lo, exec_lo
	s_delay_alu instid0(SALU_CYCLE_1)
	s_or_b32 s45, s45, vcc_lo
	s_branch .LBB6_183
.LBB6_188:                              ;   in Loop: Header=BB6_63 Depth=2
	s_or_b32 exec_lo, exec_lo, s40
	s_and_saveexec_b32 vcc_lo, s42
	s_delay_alu instid0(SALU_CYCLE_1)
	s_xor_b32 vcc_lo, exec_lo, vcc_lo
	s_cbranch_execz .LBB6_190
; %bb.189:                              ;   in Loop: Header=BB6_63 Depth=2
	ds_store_b32 v0, v11
	s_cbranch_execnz .LBB6_1904
.LBB6_190:                              ;   in Loop: Header=BB6_63 Depth=2
	s_or_b32 exec_lo, exec_lo, s39
	;;#ASMSTART
	s_wakeup
	;;#ASMEND
.LBB6_191:                              ;   in Loop: Header=BB6_63 Depth=2
	s_or_b32 exec_lo, exec_lo, s38
.LBB6_192:                              ;   in Loop: Header=BB6_63 Depth=2
	s_and_not1_saveexec_b32 vcc_lo, s37
	s_cbranch_execz .LBB6_194
; %bb.193:                              ;   in Loop: Header=BB6_63 Depth=2
	s_waitcnt lgkmcnt(0)
	s_waitcnt_vscnt null, 0x0
	buffer_gl1_inv
	buffer_gl0_inv
	s_barrier
.LBB6_194:                              ;   in Loop: Header=BB6_63 Depth=2
	s_or_b32 exec_lo, exec_lo, vcc_lo
	v_mov_b32_e32 v21, 1
	s_mov_b32 s37, s25
	s_mov_b32 s25, s4
.LBB6_195:                              ;   in Loop: Header=BB6_63 Depth=2
	s_or_b32 exec_lo, exec_lo, s2
                                        ; implicit-def: $vgpr2
	s_and_saveexec_b32 s2, s7
	s_delay_alu instid0(SALU_CYCLE_1)
	s_xor_b32 s2, exec_lo, s2
	s_cbranch_execz .LBB6_199
; %bb.196:                              ;   in Loop: Header=BB6_63 Depth=2
	v_and_b32_e32 v2, 16, v30
	s_mov_b32 s4, s13
	v_cmp_lt_i32_e32 vcc_lo, 0, v9
	s_delay_alu instid0(VALU_DEP_2) | instskip(SKIP_1) | instid1(VALU_DEP_2)
	v_cmp_ne_u32_e64 s13, 0, v2
	v_and_b32_e32 v2, 16, v30
	s_and_b32 vcc_lo, s13, vcc_lo
	s_delay_alu instid0(SALU_CYCLE_1)
	s_and_saveexec_b32 s13, vcc_lo
	s_cbranch_execz .LBB6_198
; %bb.197:                              ;   in Loop: Header=BB6_63 Depth=2
	v_mov_b32_e32 v2, 1
	s_waitcnt lgkmcnt(0)
	s_waitcnt_vscnt null, 0x0
	buffer_gl1_inv
	buffer_gl0_inv
.LBB6_198:                              ;   in Loop: Header=BB6_63 Depth=2
	s_or_b32 exec_lo, exec_lo, s13
	s_mov_b32 s13, s4
.LBB6_199:                              ;   in Loop: Header=BB6_63 Depth=2
	s_and_not1_saveexec_b32 s2, s2
	s_cbranch_execz .LBB6_221
; %bb.200:                              ;   in Loop: Header=BB6_63 Depth=2
	v_mov_b32_e32 v9, 1
	s_mov_b32 s4, s25
	s_mov_b32 s25, s37
	s_and_saveexec_b32 vcc_lo, s41
	s_delay_alu instid0(SALU_CYCLE_1)
	s_xor_b32 s37, exec_lo, vcc_lo
	s_cbranch_execz .LBB6_218
; %bb.201:                              ;   in Loop: Header=BB6_63 Depth=2
	s_and_saveexec_b32 s38, s1
	s_cbranch_execz .LBB6_217
; %bb.202:                              ;   in Loop: Header=BB6_63 Depth=2
	s_mov_b32 s40, exec_lo
	s_mov_b32 s39, exec_lo
	v_mbcnt_lo_u32_b32 v2, s40, 0
	;;#ASMSTART
	s_waitcnt lgkmcnt(0) vmcnt(0)
	;;#ASMEND
	s_delay_alu instid0(VALU_DEP_1)
	v_cmpx_eq_u32_e32 0, v2
	s_cbranch_execz .LBB6_204
; %bb.203:                              ;   in Loop: Header=BB6_63 Depth=2
	s_bcnt1_i32_b32 vcc_lo, s40
	s_delay_alu instid0(SALU_CYCLE_1)
	v_mov_b32_e32 v2, vcc_lo
	ds_add_u64 v0, v[2:3]
	s_cbranch_execnz .LBB6_1636
.LBB6_204:                              ;   in Loop: Header=BB6_63 Depth=2
	s_or_b32 exec_lo, exec_lo, s39
	s_cbranch_execnz .LBB6_1612
; %bb.205:                              ;   in Loop: Header=BB6_63 Depth=2
	ds_load_b64 v[14:15], v0
	v_add_co_u32 v80, vcc_lo, v80, v147
	v_add_co_ci_u32_e32 v81, vcc_lo, 0, v81, vcc_lo
	s_mov_b32 s39, exec_lo
	s_waitcnt lgkmcnt(0)
	s_delay_alu instid0(VALU_DEP_1)
	v_cmpx_lt_u64_e64 v[14:15], v[80:81]
	s_cbranch_execz .LBB6_216
; %bb.206:                              ;   in Loop: Header=BB6_63 Depth=2
	s_mov_b32 s40, 0
	s_mov_b32 s44, 0
                                        ; implicit-def: $sgpr42
                                        ; implicit-def: $sgpr43
	s_branch .LBB6_208
.LBB6_207:                              ;   in Loop: Header=BB6_208 Depth=3
	s_or_b32 exec_lo, exec_lo, s46
	s_delay_alu instid0(SALU_CYCLE_1) | instskip(NEXT) | instid1(SALU_CYCLE_1)
	s_and_b32 vcc_lo, exec_lo, vcc_lo
	s_or_b32 s40, vcc_lo, s40
	s_and_not1_b32 vcc_lo, s42, exec_lo
	s_and_b32 s42, s43, exec_lo
	s_delay_alu instid0(SALU_CYCLE_1)
	s_or_b32 s42, vcc_lo, s42
	s_and_not1_b32 exec_lo, exec_lo, s40
	s_cbranch_execz .LBB6_214
.LBB6_208:                              ;   Parent Loop BB6_55 Depth=1
                                        ;     Parent Loop BB6_63 Depth=2
                                        ; =>    This Inner Loop Header: Depth=3
	s_add_i32 s44, s44, 1
                                        ; implicit-def: $sgpr46
	s_delay_alu instid0(SALU_CYCLE_1) | instskip(SKIP_1) | instid1(SALU_CYCLE_1)
	s_cmpk_lg_i32 s44, 0x2710
	s_cselect_b32 s45, -1, 0
	s_and_b32 vcc_lo, exec_lo, s45
	s_cbranch_vccz .LBB6_212
.LBB6_209:                              ;   in Loop: Header=BB6_208 Depth=3
	s_and_not1_b32 s43, s43, exec_lo
	s_and_b32 s46, s46, exec_lo
	s_mov_b32 vcc_lo, -1
	s_or_b32 s43, s43, s46
	s_and_saveexec_b32 s46, s45
	s_cbranch_execz .LBB6_207
; %bb.210:                              ;   in Loop: Header=BB6_208 Depth=3
	s_sleep 1
	s_cbranch_execnz .LBB6_1684
; %bb.211:                              ;   in Loop: Header=BB6_208 Depth=3
	ds_load_b64 v[14:15], v0
	s_and_not1_b32 s43, s43, exec_lo
	s_waitcnt lgkmcnt(0)
	v_cmp_ge_u64_e32 vcc_lo, v[14:15], v[80:81]
	s_or_not1_b32 vcc_lo, vcc_lo, exec_lo
	s_branch .LBB6_207
.LBB6_212:                              ;   in Loop: Header=BB6_208 Depth=3
	s_cbranch_execnz .LBB6_1704
; %bb.213:                              ;   in Loop: Header=BB6_208 Depth=3
	ds_load_b64 v[14:15], v0
	s_and_not1_b32 s45, s45, exec_lo
	s_mov_b32 s44, 0
	s_mov_b32 s46, -1
	s_waitcnt lgkmcnt(0)
	s_waitcnt_vscnt null, 0x0
	flat_load_b32 v2, v[14:15] glc
	s_waitcnt vmcnt(0) lgkmcnt(0)
	buffer_gl1_inv
	buffer_gl0_inv
	v_cmp_eq_u32_e32 vcc_lo, 0, v2
	s_and_b32 vcc_lo, vcc_lo, exec_lo
	s_delay_alu instid0(SALU_CYCLE_1)
	s_or_b32 s45, s45, vcc_lo
	s_branch .LBB6_209
.LBB6_214:                              ;   in Loop: Header=BB6_63 Depth=2
	s_or_b32 exec_lo, exec_lo, s40
	s_and_saveexec_b32 vcc_lo, s42
	s_delay_alu instid0(SALU_CYCLE_1)
	s_xor_b32 vcc_lo, exec_lo, vcc_lo
	s_cbranch_execz .LBB6_216
; %bb.215:                              ;   in Loop: Header=BB6_63 Depth=2
	ds_store_b32 v0, v9
	s_cbranch_execnz .LBB6_1908
.LBB6_216:                              ;   in Loop: Header=BB6_63 Depth=2
	s_or_b32 exec_lo, exec_lo, s39
	;;#ASMSTART
	s_wakeup
	;;#ASMEND
.LBB6_217:                              ;   in Loop: Header=BB6_63 Depth=2
	s_or_b32 exec_lo, exec_lo, s38
.LBB6_218:                              ;   in Loop: Header=BB6_63 Depth=2
	s_and_not1_saveexec_b32 vcc_lo, s37
	s_cbranch_execz .LBB6_220
; %bb.219:                              ;   in Loop: Header=BB6_63 Depth=2
	;;#ASMSTART
	s_waitcnt lgkmcnt(0) vmcnt(0)
	;;#ASMEND
	s_waitcnt lgkmcnt(0)
	s_waitcnt_vscnt null, 0x0
	s_barrier
.LBB6_220:                              ;   in Loop: Header=BB6_63 Depth=2
	s_or_b32 exec_lo, exec_lo, vcc_lo
	v_dual_mov_b32 v21, 1 :: v_dual_and_b32 v2, 16, v30
	s_mov_b32 s37, s25
	s_mov_b32 s25, s4
.LBB6_221:                              ;   in Loop: Header=BB6_63 Depth=2
	s_or_b32 exec_lo, exec_lo, s2
	s_delay_alu instid0(SALU_CYCLE_1)
	s_mov_b32 s2, exec_lo
	v_cmpx_ne_u32_e32 0, v2
	s_cbranch_execz .LBB6_225
; %bb.222:                              ;   in Loop: Header=BB6_63 Depth=2
	s_and_saveexec_b32 s4, s6
	s_cbranch_execz .LBB6_224
; %bb.223:                              ;   in Loop: Header=BB6_63 Depth=2
	s_waitcnt lgkmcnt(0)
	s_waitcnt_vscnt null, 0x0
	flat_store_b32 v[70:71], v21
.LBB6_224:                              ;   in Loop: Header=BB6_63 Depth=2
	s_or_b32 exec_lo, exec_lo, s4
	v_add_co_u32 v66, vcc_lo, v66, 2
	v_add_co_ci_u32_e32 v67, vcc_lo, 0, v67, vcc_lo
	s_waitcnt lgkmcnt(0)
	s_waitcnt_vscnt null, 0x0
	flat_store_b64 v[64:65], v[66:67]
.LBB6_225:                              ;   in Loop: Header=BB6_63 Depth=2
	s_or_b32 exec_lo, exec_lo, s2
	v_add_nc_u32_e32 v10, v8, v10
	s_xor_b32 s2, s13, -1
	v_mov_b32_e32 v2, s17
	s_mov_b32 s13, 0
	s_mov_b32 s17, 2
	v_cmp_ge_i32_e32 vcc_lo, v10, v20
	s_or_b32 s2, s2, vcc_lo
	s_delay_alu instid0(SALU_CYCLE_1) | instskip(NEXT) | instid1(SALU_CYCLE_1)
	s_and_b32 s2, exec_lo, s2
	s_or_b32 s15, s2, s15
	s_delay_alu instid0(SALU_CYCLE_1)
	s_and_not1_b32 exec_lo, exec_lo, s15
	s_cbranch_execnz .LBB6_63
; %bb.226:                              ;   in Loop: Header=BB6_55 Depth=1
	s_or_b32 exec_lo, exec_lo, s15
.LBB6_227:                              ;   in Loop: Header=BB6_55 Depth=1
	s_delay_alu instid0(SALU_CYCLE_1) | instskip(NEXT) | instid1(SALU_CYCLE_1)
	s_or_b32 exec_lo, exec_lo, s12
	s_mov_b32 s12, exec_lo
	v_cmpx_gt_i32_e32 2, v2
	s_cbranch_execz .LBB6_310
; %bb.228:                              ;   in Loop: Header=BB6_55 Depth=1
	v_cmp_eq_u32_e64 s2, 0, v2
	s_mov_b32 s15, 0
.LBB6_229:                              ;   Parent Loop BB6_55 Depth=1
                                        ; =>  This Loop Header: Depth=2
                                        ;       Child Loop BB6_235 Depth 3
                                        ;       Child Loop BB6_264 Depth 3
	;; [unrolled: 1-line block ×3, first 2 shown]
	v_and_b32_e32 v2, 8, v30
	s_mov_b32 s13, -1
	s_mov_b32 s4, exec_lo
	s_delay_alu instid0(VALU_DEP_1)
	v_cmpx_ne_u32_e32 0, v2
	s_cbranch_execz .LBB6_243
; %bb.230:                              ;   in Loop: Header=BB6_229 Depth=2
	v_add_co_u32 v13, vcc_lo, v82, 8
	v_add_co_ci_u32_e32 v14, vcc_lo, 0, v83, vcc_lo
	v_add_co_u32 v11, vcc_lo, v66, 2
	v_add_co_ci_u32_e32 v12, vcc_lo, 0, v67, vcc_lo
	v_mov_b32_e32 v2, 1
	s_mov_b32 s13, exec_lo
	s_delay_alu instid0(VALU_DEP_2)
	v_cmpx_lt_u64_e64 v[13:14], v[11:12]
	s_cbranch_execz .LBB6_242
; %bb.231:                              ;   in Loop: Header=BB6_229 Depth=2
	v_mov_b32_e32 v2, 0
	s_mov_b32 s17, 0
                                        ; implicit-def: $sgpr38
	s_branch .LBB6_235
.LBB6_232:                              ;   in Loop: Header=BB6_235 Depth=3
	s_or_b32 exec_lo, exec_lo, s43
	v_mov_b32_e32 v9, 0
	s_or_not1_b32 s42, s42, exec_lo
.LBB6_233:                              ;   in Loop: Header=BB6_235 Depth=3
	s_or_b32 exec_lo, exec_lo, s40
	s_delay_alu instid0(VALU_DEP_1) | instskip(SKIP_2) | instid1(SALU_CYCLE_1)
	v_mov_b32_e32 v2, v9
	s_and_not1_b32 vcc_lo, s38, exec_lo
	s_and_b32 s38, s42, exec_lo
	s_or_b32 s38, vcc_lo, s38
.LBB6_234:                              ;   in Loop: Header=BB6_235 Depth=3
	s_or_b32 exec_lo, exec_lo, s39
	s_waitcnt vmcnt(0) lgkmcnt(0)
	v_add_co_u32 v13, vcc_lo, v82, 8
	v_add_co_ci_u32_e32 v14, vcc_lo, 0, v83, vcc_lo
	s_xor_b32 s39, s38, -1
	s_delay_alu instid0(VALU_DEP_1) | instskip(SKIP_1) | instid1(SALU_CYCLE_1)
	v_cmp_ge_u64_e32 vcc_lo, v[13:14], v[11:12]
	s_or_b32 vcc_lo, s39, vcc_lo
	s_and_b32 vcc_lo, exec_lo, vcc_lo
	s_delay_alu instid0(SALU_CYCLE_1) | instskip(NEXT) | instid1(SALU_CYCLE_1)
	s_or_b32 s17, vcc_lo, s17
	s_and_not1_b32 exec_lo, exec_lo, s17
	s_cbranch_execz .LBB6_241
.LBB6_235:                              ;   Parent Loop BB6_55 Depth=1
                                        ;     Parent Loop BB6_229 Depth=2
                                        ; =>    This Inner Loop Header: Depth=3
	s_sleep 1
	flat_load_b64 v[82:83], v[64:65] glc
	v_and_b32_e32 v9, 64, v30
	s_and_not1_b32 s38, s38, exec_lo
	s_mov_b32 s39, exec_lo
	s_delay_alu instid0(VALU_DEP_1)
	v_cmpx_eq_u32_e32 0, v9
	s_cbranch_execz .LBB6_234
; %bb.236:                              ;   in Loop: Header=BB6_235 Depth=3
	v_add_nc_u32_e32 v9, 1, v2
	s_mov_b32 s42, -1
	s_mov_b32 s40, exec_lo
	v_cmpx_lt_i32_e32 0x270e, v2
	s_cbranch_execz .LBB6_233
; %bb.237:                              ;   in Loop: Header=BB6_235 Depth=3
	s_cbranch_execnz .LBB6_1511
; %bb.238:                              ;   in Loop: Header=BB6_235 Depth=3
	ds_load_b64 v[13:14], v0
	s_mov_b32 s43, exec_lo
	s_waitcnt vmcnt(0) lgkmcnt(0)
	s_waitcnt_vscnt null, 0x0
	flat_load_b32 v2, v[13:14] glc
	s_waitcnt vmcnt(0) lgkmcnt(0)
	buffer_gl1_inv
	buffer_gl0_inv
	v_cmpx_ne_u32_e32 0, v2
	s_cbranch_execz .LBB6_232
; %bb.239:                              ;   in Loop: Header=BB6_235 Depth=3
	ds_store_b32 v0, v2
	s_cbranch_execnz .LBB6_1523
; %bb.240:                              ;   in Loop: Header=BB6_235 Depth=3
	v_or_b32_e32 v30, 64, v30
	s_xor_b32 s42, exec_lo, -1
	s_branch .LBB6_232
.LBB6_241:                              ;   in Loop: Header=BB6_229 Depth=2
	s_or_b32 exec_lo, exec_lo, s17
	v_and_b32_e32 v2, 8, v30
.LBB6_242:                              ;   in Loop: Header=BB6_229 Depth=2
	s_or_b32 exec_lo, exec_lo, s13
	s_delay_alu instid0(VALU_DEP_1)
	v_cmp_eq_u32_e32 vcc_lo, 0, v2
	;;#ASMSTART
	s_wakeup
	;;#ASMEND
	s_or_not1_b32 s13, vcc_lo, exec_lo
.LBB6_243:                              ;   in Loop: Header=BB6_229 Depth=2
	s_or_b32 exec_lo, exec_lo, s4
	v_sub_nc_u32_e32 v2, v20, v10
	s_xor_b32 s2, s2, -1
	s_delay_alu instid0(SALU_CYCLE_1) | instskip(NEXT) | instid1(SALU_CYCLE_1)
	s_and_b32 s2, exec_lo, s2
	s_or_b32 s15, s2, s15
	s_delay_alu instid0(VALU_DEP_1) | instskip(SKIP_1) | instid1(SALU_CYCLE_1)
	v_min_i32_e32 v8, v8, v2
	s_xor_b32 s4, s13, -1
	s_and_saveexec_b32 s2, s4
	s_cbranch_execz .LBB6_253
; %bb.244:                              ;   in Loop: Header=BB6_229 Depth=2
	v_and_b32_e32 v2, 0x100, v30
	v_and_b32_e32 v11, 7, v66
	s_mov_b32 s13, 0
	s_mov_b32 s4, exec_lo
                                        ; implicit-def: $vgpr13_vgpr14
	s_delay_alu instid0(VALU_DEP_2)
	v_cmpx_ne_u32_e32 0, v2
	s_xor_b32 s4, exec_lo, s4
	s_cbranch_execz .LBB6_261
; %bb.245:                              ;   in Loop: Header=BB6_229 Depth=2
	v_mad_u64_u32 v[15:16], null, v11, 24, v[6:7]
	v_ashrrev_i32_e32 v9, 31, v8
	s_mov_b32 s13, -1
	s_mov_b32 s17, exec_lo
	s_delay_alu instid0(VALU_DEP_1)
	v_lshlrev_b64 v[12:13], 3, v[8:9]
	flat_load_b32 v2, v[15:16]
	flat_store_b64 v[15:16], v[12:13] offset:8
                                        ; implicit-def: $vgpr13_vgpr14
	s_waitcnt vmcnt(0) lgkmcnt(1)
	v_cmpx_eq_u32_e32 1, v2
	s_cbranch_execz .LBB6_247
; %bb.246:                              ;   in Loop: Header=BB6_229 Depth=2
	flat_load_b32 v11, v[15:16] offset:4 glc
	s_xor_b32 s13, exec_lo, -1
	s_waitcnt vmcnt(0) lgkmcnt(0)
	v_ashrrev_i32_e32 v12, 31, v11
	s_delay_alu instid0(VALU_DEP_1)
	v_lshrrev_b64 v[13:14], 3, v[11:12]
                                        ; implicit-def: $vgpr11_vgpr12
.LBB6_247:                              ;   in Loop: Header=BB6_229 Depth=2
	s_or_b32 exec_lo, exec_lo, s17
	s_delay_alu instid0(SALU_CYCLE_1)
	s_and_b32 s13, s13, exec_lo
	s_and_not1_saveexec_b32 s4, s4
	s_cbranch_execnz .LBB6_262
.LBB6_248:                              ;   in Loop: Header=BB6_229 Depth=2
	s_or_b32 exec_lo, exec_lo, s4
	s_and_saveexec_b32 s4, s13
.LBB6_249:                              ;   in Loop: Header=BB6_229 Depth=2
	v_mul_lo_u32 v2, v3, v145
	v_mul_lo_u32 v9, v11, v146
	v_mad_u64_u32 v[13:14], null, v11, v145, 0
	s_delay_alu instid0(VALU_DEP_1)
	v_add3_u32 v14, v14, v9, v2
.LBB6_250:                              ;   in Loop: Header=BB6_229 Depth=2
	s_or_b32 exec_lo, exec_lo, s4
	s_delay_alu instid0(VALU_DEP_1) | instskip(SKIP_2) | instid1(VALU_DEP_2)
	v_lshlrev_b64 v[11:12], 3, v[13:14]
	v_and_b32_e32 v2, 0x2000, v30
	s_mov_b32 s4, exec_lo
	v_add_co_u32 v11, vcc_lo, v68, v11
	s_delay_alu instid0(VALU_DEP_3)
	v_add_co_ci_u32_e32 v12, vcc_lo, v69, v12, vcc_lo
	ds_store_b64 v0, v[11:12] offset:784
	v_cmpx_ne_u32_e32 0, v2
	s_cbranch_execz .LBB6_252
; %bb.251:                              ;   in Loop: Header=BB6_229 Depth=2
	ds_load_b64 v[11:12], v0 offset:584
	s_waitcnt lgkmcnt(0)
	v_add_co_u32 v11, vcc_lo, v11, 1
	v_add_co_ci_u32_e32 v12, vcc_lo, 0, v12, vcc_lo
	ds_store_b64 v0, v[11:12] offset:584
.LBB6_252:                              ;   in Loop: Header=BB6_229 Depth=2
	s_or_b32 exec_lo, exec_lo, s4
	v_add_co_u32 v66, vcc_lo, v66, 2
	v_add_co_ci_u32_e32 v67, vcc_lo, 0, v67, vcc_lo
.LBB6_253:                              ;   in Loop: Header=BB6_229 Depth=2
	s_or_b32 exec_lo, exec_lo, s2
	s_and_saveexec_b32 s2, s3
	s_cbranch_execz .LBB6_277
; %bb.254:                              ;   in Loop: Header=BB6_229 Depth=2
	s_and_saveexec_b32 s4, s41
	s_delay_alu instid0(SALU_CYCLE_1)
	s_xor_b32 s4, exec_lo, s4
	s_cbranch_execz .LBB6_274
; %bb.255:                              ;   in Loop: Header=BB6_229 Depth=2
	s_and_saveexec_b32 s13, s1
	s_cbranch_execz .LBB6_273
; %bb.256:                              ;   in Loop: Header=BB6_229 Depth=2
	s_mov_b32 s17, exec_lo
	s_mov_b32 s38, exec_lo
	v_mbcnt_lo_u32_b32 v2, s17, 0
	s_waitcnt lgkmcnt(0)
	s_waitcnt_vscnt null, 0x0
	buffer_gl1_inv
	buffer_gl0_inv
	v_cmpx_eq_u32_e32 0, v2
	s_cbranch_execz .LBB6_258
; %bb.257:                              ;   in Loop: Header=BB6_229 Depth=2
	s_bcnt1_i32_b32 s17, s17
	s_delay_alu instid0(SALU_CYCLE_1)
	v_mov_b32_e32 v2, s17
	ds_add_u64 v0, v[2:3]
	s_cbranch_execnz .LBB6_1554
.LBB6_258:                              ;   in Loop: Header=BB6_229 Depth=2
	v_mov_b32_e32 v2, 1
	s_or_b32 exec_lo, exec_lo, s38
	s_cbranch_execnz .LBB6_1536
; %bb.259:                              ;   in Loop: Header=BB6_229 Depth=2
	ds_load_b64 v[11:12], v0
	v_add_co_u32 v80, vcc_lo, v80, v147
	v_add_co_ci_u32_e32 v81, vcc_lo, 0, v81, vcc_lo
	s_mov_b32 s17, s25
	s_mov_b32 s25, s37
	s_mov_b32 s37, exec_lo
	s_waitcnt lgkmcnt(0)
	v_cmpx_lt_u64_e64 v[11:12], v[80:81]
	s_cbranch_execz .LBB6_272
; %bb.260:                              ;   in Loop: Header=BB6_229 Depth=2
	s_mov_b32 s38, 0
	s_mov_b32 s42, 0
                                        ; implicit-def: $sgpr39
                                        ; implicit-def: $sgpr40
	s_branch .LBB6_264
.LBB6_261:                              ;   in Loop: Header=BB6_229 Depth=2
	s_and_not1_saveexec_b32 s4, s4
	s_cbranch_execz .LBB6_248
.LBB6_262:                              ;   in Loop: Header=BB6_229 Depth=2
	s_or_b32 s13, s13, exec_lo
                                        ; implicit-def: $vgpr13_vgpr14
	s_or_b32 exec_lo, exec_lo, s4
	s_and_saveexec_b32 s4, s13
	s_cbranch_execnz .LBB6_249
	s_branch .LBB6_250
.LBB6_263:                              ;   in Loop: Header=BB6_264 Depth=3
	s_or_b32 exec_lo, exec_lo, s44
	s_delay_alu instid0(SALU_CYCLE_1) | instskip(NEXT) | instid1(SALU_CYCLE_1)
	s_and_b32 vcc_lo, exec_lo, vcc_lo
	s_or_b32 s38, vcc_lo, s38
	s_and_not1_b32 vcc_lo, s39, exec_lo
	s_and_b32 s39, s40, exec_lo
	s_delay_alu instid0(SALU_CYCLE_1)
	s_or_b32 s39, vcc_lo, s39
	s_and_not1_b32 exec_lo, exec_lo, s38
	s_cbranch_execz .LBB6_270
.LBB6_264:                              ;   Parent Loop BB6_55 Depth=1
                                        ;     Parent Loop BB6_229 Depth=2
                                        ; =>    This Inner Loop Header: Depth=3
	s_add_i32 s42, s42, 1
                                        ; implicit-def: $sgpr44
	s_delay_alu instid0(SALU_CYCLE_1) | instskip(SKIP_1) | instid1(SALU_CYCLE_1)
	s_cmpk_lg_i32 s42, 0x2710
	s_cselect_b32 s43, -1, 0
	s_and_b32 vcc_lo, exec_lo, s43
	s_cbranch_vccz .LBB6_268
.LBB6_265:                              ;   in Loop: Header=BB6_264 Depth=3
	s_and_not1_b32 s40, s40, exec_lo
	s_and_b32 s44, s44, exec_lo
	s_mov_b32 vcc_lo, -1
	s_or_b32 s40, s40, s44
	s_and_saveexec_b32 s44, s43
	s_cbranch_execz .LBB6_263
; %bb.266:                              ;   in Loop: Header=BB6_264 Depth=3
	s_sleep 1
	s_cbranch_execnz .LBB6_1584
; %bb.267:                              ;   in Loop: Header=BB6_264 Depth=3
	ds_load_b64 v[11:12], v0
	s_and_not1_b32 s40, s40, exec_lo
	s_waitcnt lgkmcnt(0)
	v_cmp_ge_u64_e32 vcc_lo, v[11:12], v[80:81]
	s_or_not1_b32 vcc_lo, vcc_lo, exec_lo
	s_branch .LBB6_263
.LBB6_268:                              ;   in Loop: Header=BB6_264 Depth=3
	s_cbranch_execnz .LBB6_1590
; %bb.269:                              ;   in Loop: Header=BB6_264 Depth=3
	ds_load_b64 v[11:12], v0
	s_and_not1_b32 s43, s43, exec_lo
	s_mov_b32 s42, 0
	s_mov_b32 s44, -1
	s_waitcnt lgkmcnt(0)
	flat_load_b32 v9, v[11:12] glc
	s_waitcnt vmcnt(0) lgkmcnt(0)
	buffer_gl1_inv
	buffer_gl0_inv
	v_cmp_eq_u32_e32 vcc_lo, 0, v9
	s_and_b32 vcc_lo, vcc_lo, exec_lo
	s_delay_alu instid0(SALU_CYCLE_1)
	s_or_b32 s43, s43, vcc_lo
	s_branch .LBB6_265
.LBB6_270:                              ;   in Loop: Header=BB6_229 Depth=2
	s_or_b32 exec_lo, exec_lo, s38
	s_and_saveexec_b32 vcc_lo, s39
	s_delay_alu instid0(SALU_CYCLE_1)
	s_xor_b32 vcc_lo, exec_lo, vcc_lo
	s_cbranch_execz .LBB6_272
; %bb.271:                              ;   in Loop: Header=BB6_229 Depth=2
	ds_store_b32 v0, v2
	s_cbranch_execnz .LBB6_1802
.LBB6_272:                              ;   in Loop: Header=BB6_229 Depth=2
	s_or_b32 exec_lo, exec_lo, s37
	v_mov_b32_e32 v21, 1
	s_mov_b32 s37, s25
	s_mov_b32 s25, s17
	;;#ASMSTART
	s_wakeup
	;;#ASMEND
.LBB6_273:                              ;   in Loop: Header=BB6_229 Depth=2
	s_or_b32 exec_lo, exec_lo, s13
.LBB6_274:                              ;   in Loop: Header=BB6_229 Depth=2
	s_and_not1_saveexec_b32 s4, s4
	s_cbranch_execz .LBB6_276
; %bb.275:                              ;   in Loop: Header=BB6_229 Depth=2
	s_waitcnt lgkmcnt(0)
	s_waitcnt_vscnt null, 0x0
	buffer_gl1_inv
	buffer_gl0_inv
	s_barrier
.LBB6_276:                              ;   in Loop: Header=BB6_229 Depth=2
	s_or_b32 exec_lo, exec_lo, s4
.LBB6_277:                              ;   in Loop: Header=BB6_229 Depth=2
	s_delay_alu instid0(SALU_CYCLE_1) | instskip(SKIP_1) | instid1(SALU_CYCLE_1)
	s_or_b32 exec_lo, exec_lo, s2
                                        ; implicit-def: $vgpr2
	s_and_saveexec_b32 s2, s7
	s_xor_b32 s2, exec_lo, s2
	s_cbranch_execz .LBB6_282
; %bb.278:                              ;   in Loop: Header=BB6_229 Depth=2
	s_cbranch_execnz .LBB6_1509
; %bb.279:                              ;   in Loop: Header=BB6_229 Depth=2
	ds_load_b32 v2, v0
	v_cmp_lt_i32_e32 vcc_lo, 0, v8
	s_waitcnt lgkmcnt(0)
	v_readfirstlane_b32 s4, v2
	v_and_b32_e32 v2, 16, v30
	s_delay_alu instid0(VALU_DEP_2) | instskip(NEXT) | instid1(VALU_DEP_1)
	s_cmp_eq_u32 s4, 0
	v_cmp_ne_u32_e64 s13, 0, v2
	s_cselect_b32 s4, -1, 0
	v_and_b32_e32 v2, 16, v30
	s_and_b32 s4, vcc_lo, s4
	s_delay_alu instid0(VALU_DEP_2) | instid1(SALU_CYCLE_1)
	s_and_b32 s13, s13, s4
	s_delay_alu instid0(SALU_CYCLE_1)
	s_and_saveexec_b32 s4, s13
	s_cbranch_execz .LBB6_281
; %bb.280:                              ;   in Loop: Header=BB6_229 Depth=2
	v_mov_b32_e32 v2, 1
	s_waitcnt_vscnt null, 0x0
	buffer_gl1_inv
	buffer_gl0_inv
.LBB6_281:                              ;   in Loop: Header=BB6_229 Depth=2
	s_or_b32 exec_lo, exec_lo, s4
.LBB6_282:                              ;   in Loop: Header=BB6_229 Depth=2
	s_and_not1_saveexec_b32 s2, s2
	s_cbranch_execz .LBB6_304
; %bb.283:                              ;   in Loop: Header=BB6_229 Depth=2
	s_and_saveexec_b32 s4, s41
	s_delay_alu instid0(SALU_CYCLE_1)
	s_xor_b32 s4, exec_lo, s4
	s_cbranch_execz .LBB6_301
; %bb.284:                              ;   in Loop: Header=BB6_229 Depth=2
	s_and_saveexec_b32 s13, s1
	s_cbranch_execz .LBB6_300
; %bb.285:                              ;   in Loop: Header=BB6_229 Depth=2
	s_mov_b32 s38, exec_lo
	v_mov_b32_e32 v9, 1
	v_mbcnt_lo_u32_b32 v2, s38, 0
	s_mov_b32 s17, s25
	s_mov_b32 s25, s37
	s_mov_b32 s37, exec_lo
	;;#ASMSTART
	s_waitcnt lgkmcnt(0) vmcnt(0)
	;;#ASMEND
	v_cmpx_eq_u32_e32 0, v2
	s_cbranch_execz .LBB6_287
; %bb.286:                              ;   in Loop: Header=BB6_229 Depth=2
	s_bcnt1_i32_b32 vcc_lo, s38
	s_delay_alu instid0(SALU_CYCLE_1)
	v_mov_b32_e32 v2, vcc_lo
	ds_add_u64 v0, v[2:3]
	s_cbranch_execnz .LBB6_1572
.LBB6_287:                              ;   in Loop: Header=BB6_229 Depth=2
	s_or_b32 exec_lo, exec_lo, s37
	s_cbranch_execnz .LBB6_1552
; %bb.288:                              ;   in Loop: Header=BB6_229 Depth=2
	ds_load_b64 v[11:12], v0
	v_add_co_u32 v80, vcc_lo, v80, v147
	v_add_co_ci_u32_e32 v81, vcc_lo, 0, v81, vcc_lo
	s_mov_b32 s37, exec_lo
	s_waitcnt lgkmcnt(0)
	s_delay_alu instid0(VALU_DEP_1)
	v_cmpx_lt_u64_e64 v[11:12], v[80:81]
	s_cbranch_execz .LBB6_299
; %bb.289:                              ;   in Loop: Header=BB6_229 Depth=2
	s_mov_b32 s38, 0
	s_mov_b32 s42, 0
                                        ; implicit-def: $sgpr39
                                        ; implicit-def: $sgpr40
	s_branch .LBB6_291
.LBB6_290:                              ;   in Loop: Header=BB6_291 Depth=3
	s_or_b32 exec_lo, exec_lo, s44
	s_delay_alu instid0(SALU_CYCLE_1) | instskip(NEXT) | instid1(SALU_CYCLE_1)
	s_and_b32 vcc_lo, exec_lo, vcc_lo
	s_or_b32 s38, vcc_lo, s38
	s_and_not1_b32 vcc_lo, s39, exec_lo
	s_and_b32 s39, s40, exec_lo
	s_delay_alu instid0(SALU_CYCLE_1)
	s_or_b32 s39, vcc_lo, s39
	s_and_not1_b32 exec_lo, exec_lo, s38
	s_cbranch_execz .LBB6_297
.LBB6_291:                              ;   Parent Loop BB6_55 Depth=1
                                        ;     Parent Loop BB6_229 Depth=2
                                        ; =>    This Inner Loop Header: Depth=3
	s_add_i32 s42, s42, 1
                                        ; implicit-def: $sgpr44
	s_delay_alu instid0(SALU_CYCLE_1) | instskip(SKIP_1) | instid1(SALU_CYCLE_1)
	s_cmpk_lg_i32 s42, 0x2710
	s_cselect_b32 s43, -1, 0
	s_and_b32 vcc_lo, exec_lo, s43
	s_cbranch_vccz .LBB6_295
.LBB6_292:                              ;   in Loop: Header=BB6_291 Depth=3
	s_and_not1_b32 s40, s40, exec_lo
	s_and_b32 s44, s44, exec_lo
	s_mov_b32 vcc_lo, -1
	s_or_b32 s40, s40, s44
	s_and_saveexec_b32 s44, s43
	s_cbranch_execz .LBB6_290
; %bb.293:                              ;   in Loop: Header=BB6_291 Depth=3
	s_sleep 1
	s_cbranch_execnz .LBB6_1596
; %bb.294:                              ;   in Loop: Header=BB6_291 Depth=3
	ds_load_b64 v[11:12], v0
	s_and_not1_b32 s40, s40, exec_lo
	s_waitcnt lgkmcnt(0)
	v_cmp_ge_u64_e32 vcc_lo, v[11:12], v[80:81]
	s_or_not1_b32 vcc_lo, vcc_lo, exec_lo
	s_branch .LBB6_290
.LBB6_295:                              ;   in Loop: Header=BB6_291 Depth=3
	s_cbranch_execnz .LBB6_1608
; %bb.296:                              ;   in Loop: Header=BB6_291 Depth=3
	ds_load_b64 v[11:12], v0
	s_and_not1_b32 s43, s43, exec_lo
	s_mov_b32 s42, 0
	s_mov_b32 s44, -1
	s_waitcnt lgkmcnt(0)
	s_waitcnt_vscnt null, 0x0
	flat_load_b32 v2, v[11:12] glc
	s_waitcnt vmcnt(0) lgkmcnt(0)
	buffer_gl1_inv
	buffer_gl0_inv
	v_cmp_eq_u32_e32 vcc_lo, 0, v2
	s_and_b32 vcc_lo, vcc_lo, exec_lo
	s_delay_alu instid0(SALU_CYCLE_1)
	s_or_b32 s43, s43, vcc_lo
	s_branch .LBB6_292
.LBB6_297:                              ;   in Loop: Header=BB6_229 Depth=2
	s_or_b32 exec_lo, exec_lo, s38
	s_and_saveexec_b32 vcc_lo, s39
	s_delay_alu instid0(SALU_CYCLE_1)
	s_xor_b32 vcc_lo, exec_lo, vcc_lo
	s_cbranch_execz .LBB6_299
; %bb.298:                              ;   in Loop: Header=BB6_229 Depth=2
	ds_store_b32 v0, v9
	s_cbranch_execnz .LBB6_1822
.LBB6_299:                              ;   in Loop: Header=BB6_229 Depth=2
	s_or_b32 exec_lo, exec_lo, s37
	v_mov_b32_e32 v21, 1
	s_mov_b32 s37, s25
	s_mov_b32 s25, s17
	;;#ASMSTART
	s_wakeup
	;;#ASMEND
.LBB6_300:                              ;   in Loop: Header=BB6_229 Depth=2
	s_or_b32 exec_lo, exec_lo, s13
.LBB6_301:                              ;   in Loop: Header=BB6_229 Depth=2
	s_and_not1_saveexec_b32 s4, s4
	s_cbranch_execz .LBB6_303
; %bb.302:                              ;   in Loop: Header=BB6_229 Depth=2
	;;#ASMSTART
	s_waitcnt lgkmcnt(0) vmcnt(0)
	;;#ASMEND
	s_waitcnt lgkmcnt(0)
	s_waitcnt_vscnt null, 0x0
	s_barrier
.LBB6_303:                              ;   in Loop: Header=BB6_229 Depth=2
	s_or_b32 exec_lo, exec_lo, s4
	v_and_b32_e32 v2, 16, v30
.LBB6_304:                              ;   in Loop: Header=BB6_229 Depth=2
	s_or_b32 exec_lo, exec_lo, s2
	s_delay_alu instid0(SALU_CYCLE_1) | instskip(NEXT) | instid1(VALU_DEP_1)
	s_mov_b32 s2, exec_lo
	v_cmpx_ne_u32_e32 0, v2
	s_cbranch_execz .LBB6_308
; %bb.305:                              ;   in Loop: Header=BB6_229 Depth=2
	s_and_saveexec_b32 s4, s6
	s_cbranch_execz .LBB6_307
; %bb.306:                              ;   in Loop: Header=BB6_229 Depth=2
	s_waitcnt lgkmcnt(0)
	s_waitcnt_vscnt null, 0x0
	flat_store_b32 v[70:71], v21
.LBB6_307:                              ;   in Loop: Header=BB6_229 Depth=2
	s_or_b32 exec_lo, exec_lo, s4
	v_add_co_u32 v66, vcc_lo, v66, 2
	v_add_co_ci_u32_e32 v67, vcc_lo, 0, v67, vcc_lo
	s_waitcnt lgkmcnt(0)
	s_waitcnt_vscnt null, 0x0
	flat_store_b64 v[64:65], v[66:67]
.LBB6_308:                              ;   in Loop: Header=BB6_229 Depth=2
	s_or_b32 exec_lo, exec_lo, s2
	v_add_nc_u32_e32 v10, v8, v10
	s_mov_b32 s2, 0
	s_and_not1_b32 exec_lo, exec_lo, s15
	s_cbranch_execnz .LBB6_229
; %bb.309:                              ;   in Loop: Header=BB6_55 Depth=1
	s_or_b32 exec_lo, exec_lo, s15
.LBB6_310:                              ;   in Loop: Header=BB6_55 Depth=1
	s_delay_alu instid0(SALU_CYCLE_1) | instskip(NEXT) | instid1(SALU_CYCLE_1)
	s_or_b32 exec_lo, exec_lo, s12
	s_and_not1_b32 vcc_lo, exec_lo, s34
	s_cbranch_vccnz .LBB6_567
; %bb.311:                              ;   in Loop: Header=BB6_55 Depth=1
	s_mov_b32 s12, s6
	s_mov_b32 s6, s10
	;; [unrolled: 1-line block ×6, first 2 shown]
	v_writelane_b32 v74, s25, 1
.LBB6_312:                              ;   Parent Loop BB6_55 Depth=1
                                        ; =>  This Loop Header: Depth=2
                                        ;       Child Loop BB6_314 Depth 3
                                        ;         Child Loop BB6_323 Depth 4
                                        ;         Child Loop BB6_355 Depth 4
	;; [unrolled: 1-line block ×9, first 2 shown]
                                        ;       Child Loop BB6_483 Depth 3
                                        ;         Child Loop BB6_489 Depth 4
                                        ;         Child Loop BB6_519 Depth 4
	;; [unrolled: 1-line block ×3, first 2 shown]
	s_sub_i32 s2, s18, s15
	v_mov_b32_e32 v10, 0
	s_cmp_le_i32 s27, s2
	s_mov_b32 s17, 0
	s_cselect_b32 s4, s27, 0
	s_delay_alu instid0(SALU_CYCLE_1) | instskip(NEXT) | instid1(SALU_CYCLE_1)
	s_sub_i32 s2, s2, s4
	s_ashr_i32 s4, s2, 31
	v_mul_lo_u32 v2, v97, s2
	v_mad_u64_u32 v[11:12], null, v96, s2, 0
	v_mul_lo_u32 v8, v96, s4
	s_delay_alu instid0(VALU_DEP_1) | instskip(NEXT) | instid1(VALU_DEP_3)
	v_add3_u32 v12, v12, v8, v2
	v_sub_co_u32 v8, vcc_lo, v98, v11
	s_delay_alu instid0(VALU_DEP_2) | instskip(NEXT) | instid1(VALU_DEP_1)
	v_sub_co_ci_u32_e32 v9, vcc_lo, v99, v12, vcc_lo
	v_cmp_lt_i64_e32 vcc_lo, v[96:97], v[8:9]
	v_cndmask_b32_e32 v8, v8, v96, vcc_lo
	s_delay_alu instid0(VALU_DEP_1) | instskip(NEXT) | instid1(VALU_DEP_1)
	v_max_i32_e32 v20, 0, v8
	v_add_nc_u32_e32 v2, 31, v20
	s_delay_alu instid0(VALU_DEP_1) | instskip(NEXT) | instid1(VALU_DEP_1)
	v_lshrrev_b32_e32 v2, 1, v2
	v_and_b32_e32 v9, 0x3ffffff0, v2
	v_cmp_lt_i32_e32 vcc_lo, 0, v8
	v_mov_b32_e32 v2, 0
	s_delay_alu instid0(VALU_DEP_3) | instskip(SKIP_1) | instid1(SALU_CYCLE_1)
	v_max_i32_e32 v8, s19, v9
	s_and_b32 s2, s36, vcc_lo
	s_and_saveexec_b32 s16, s2
	s_cbranch_execz .LBB6_481
; %bb.313:                              ;   in Loop: Header=BB6_312 Depth=2
	v_lshlrev_b64 v[12:13], 3, v[11:12]
	v_mov_b32_e32 v10, 0
	s_mov_b32 s13, 1
	s_mov_b32 s4, -1
.LBB6_314:                              ;   Parent Loop BB6_55 Depth=1
                                        ;     Parent Loop BB6_312 Depth=2
                                        ; =>    This Loop Header: Depth=3
                                        ;         Child Loop BB6_323 Depth 4
                                        ;         Child Loop BB6_355 Depth 4
	;; [unrolled: 1-line block ×9, first 2 shown]
	s_and_saveexec_b32 s2, s0
	s_cbranch_execz .LBB6_317
; %bb.315:                              ;   in Loop: Header=BB6_314 Depth=3
	s_cbranch_execnz .LBB6_1519
; %bb.316:                              ;   in Loop: Header=BB6_314 Depth=3
	ds_load_b64 v[14:15], v0
	v_lshlrev_b64 v[16:17], 3, v[100:101]
	v_ashrrev_i32_e32 v11, 31, v10
	s_waitcnt lgkmcnt(0)
	s_delay_alu instid0(VALU_DEP_2) | instskip(NEXT) | instid1(VALU_DEP_3)
	v_add_co_u32 v2, vcc_lo, v14, v16
	v_add_co_ci_u32_e32 v9, vcc_lo, v15, v17, vcc_lo
	s_delay_alu instid0(VALU_DEP_3) | instskip(NEXT) | instid1(VALU_DEP_3)
	v_lshlrev_b64 v[14:15], 3, v[10:11]
	v_add_co_u32 v2, vcc_lo, v2, v12
	s_delay_alu instid0(VALU_DEP_3) | instskip(NEXT) | instid1(VALU_DEP_2)
	v_add_co_ci_u32_e32 v9, vcc_lo, v9, v13, vcc_lo
	v_add_co_u32 v14, vcc_lo, v2, v14
	s_delay_alu instid0(VALU_DEP_2)
	v_add_co_ci_u32_e32 v15, vcc_lo, v9, v15, vcc_lo
	v_mov_b32_e32 v2, v3
	ds_store_b64 v0, v[14:15]
	ds_store_b64 v0, v[2:3]
.LBB6_317:                              ;   in Loop: Header=BB6_314 Depth=3
	s_or_b32 exec_lo, exec_lo, s2
	v_and_b32_e32 v2, 12, v30
	s_mov_b32 s25, -1
	s_mov_b32 s2, exec_lo
	s_delay_alu instid0(VALU_DEP_1)
	v_cmpx_ne_u32_e32 0, v2
	v_writelane_b32 v74, s4, 20
	v_writelane_b32 v74, s13, 21
	s_cbranch_execz .LBB6_331
; %bb.318:                              ;   in Loop: Header=BB6_314 Depth=3
	v_dual_mov_b32 v9, 1 :: v_dual_and_b32 v2, 8, v30
	s_mov_b32 s4, s37
	s_mov_b32 s13, s14
	s_mov_b32 s14, exec_lo
	s_delay_alu instid0(VALU_DEP_1) | instskip(SKIP_3) | instid1(VALU_DEP_1)
	v_add_co_u32 v16, vcc_lo, v82, v2
	v_add_co_ci_u32_e32 v17, vcc_lo, 0, v83, vcc_lo
	v_add_co_u32 v14, vcc_lo, v66, 2
	v_add_co_ci_u32_e32 v15, vcc_lo, 0, v67, vcc_lo
	v_cmpx_lt_u64_e64 v[16:17], v[14:15]
	s_cbranch_execz .LBB6_330
; %bb.319:                              ;   in Loop: Header=BB6_314 Depth=3
	v_mov_b32_e32 v9, 0
	s_mov_b32 s25, 0
                                        ; implicit-def: $sgpr37
	s_branch .LBB6_323
.LBB6_320:                              ;   in Loop: Header=BB6_323 Depth=4
	s_or_b32 exec_lo, exec_lo, s42
	v_mov_b32_e32 v11, 0
	s_or_not1_b32 s40, s40, exec_lo
.LBB6_321:                              ;   in Loop: Header=BB6_323 Depth=4
	s_or_b32 exec_lo, exec_lo, s39
	s_delay_alu instid0(VALU_DEP_1) | instskip(SKIP_2) | instid1(SALU_CYCLE_1)
	v_mov_b32_e32 v9, v11
	s_and_not1_b32 vcc_lo, s37, exec_lo
	s_and_b32 s37, s40, exec_lo
	s_or_b32 s37, vcc_lo, s37
.LBB6_322:                              ;   in Loop: Header=BB6_323 Depth=4
	s_or_b32 exec_lo, exec_lo, s38
	s_waitcnt vmcnt(0) lgkmcnt(0)
	v_add_co_u32 v16, vcc_lo, v82, v2
	v_add_co_ci_u32_e32 v17, vcc_lo, 0, v83, vcc_lo
	s_xor_b32 s38, s37, -1
	s_delay_alu instid0(VALU_DEP_1) | instskip(SKIP_1) | instid1(SALU_CYCLE_1)
	v_cmp_ge_u64_e32 vcc_lo, v[16:17], v[14:15]
	s_or_b32 vcc_lo, s38, vcc_lo
	s_and_b32 vcc_lo, exec_lo, vcc_lo
	s_delay_alu instid0(SALU_CYCLE_1) | instskip(NEXT) | instid1(SALU_CYCLE_1)
	s_or_b32 s25, vcc_lo, s25
	s_and_not1_b32 exec_lo, exec_lo, s25
	s_cbranch_execz .LBB6_329
.LBB6_323:                              ;   Parent Loop BB6_55 Depth=1
                                        ;     Parent Loop BB6_312 Depth=2
                                        ;       Parent Loop BB6_314 Depth=3
                                        ; =>      This Inner Loop Header: Depth=4
	s_sleep 1
	flat_load_b64 v[82:83], v[64:65] glc
	v_and_b32_e32 v11, 64, v30
	s_and_not1_b32 s37, s37, exec_lo
	s_mov_b32 s38, exec_lo
	s_delay_alu instid0(VALU_DEP_1)
	v_cmpx_eq_u32_e32 0, v11
	s_cbranch_execz .LBB6_322
; %bb.324:                              ;   in Loop: Header=BB6_323 Depth=4
	v_add_nc_u32_e32 v11, 1, v9
	s_mov_b32 s40, -1
	s_mov_b32 s39, exec_lo
	v_cmpx_lt_i32_e32 0x270e, v9
	s_cbranch_execz .LBB6_321
; %bb.325:                              ;   in Loop: Header=BB6_323 Depth=4
	s_cbranch_execnz .LBB6_1550
; %bb.326:                              ;   in Loop: Header=BB6_323 Depth=4
	ds_load_b64 v[16:17], v0
	s_mov_b32 s42, exec_lo
	s_waitcnt vmcnt(0) lgkmcnt(0)
	s_waitcnt_vscnt null, 0x0
	flat_load_b32 v9, v[16:17] glc
	s_waitcnt vmcnt(0) lgkmcnt(0)
	buffer_gl1_inv
	buffer_gl0_inv
	v_cmpx_ne_u32_e32 0, v9
	s_cbranch_execz .LBB6_320
; %bb.327:                              ;   in Loop: Header=BB6_323 Depth=4
	ds_store_b32 v0, v9
	s_cbranch_execnz .LBB6_1600
; %bb.328:                              ;   in Loop: Header=BB6_323 Depth=4
	v_or_b32_e32 v30, 64, v30
	s_xor_b32 s40, exec_lo, -1
	s_branch .LBB6_320
.LBB6_329:                              ;   in Loop: Header=BB6_314 Depth=3
	s_or_b32 exec_lo, exec_lo, s25
	v_and_b32_e32 v9, 12, v30
.LBB6_330:                              ;   in Loop: Header=BB6_314 Depth=3
	s_or_b32 exec_lo, exec_lo, s14
	s_delay_alu instid0(VALU_DEP_1)
	v_cmp_eq_u32_e32 vcc_lo, 0, v9
	s_mov_b32 s14, s13
	s_mov_b32 s37, s4
	;;#ASMSTART
	s_wakeup
	;;#ASMEND
	s_or_not1_b32 s25, vcc_lo, exec_lo
.LBB6_331:                              ;   in Loop: Header=BB6_314 Depth=3
	s_or_b32 exec_lo, exec_lo, s2
	v_sub_nc_u32_e32 v2, v20, v10
	s_xor_b32 s4, s25, -1
	s_delay_alu instid0(VALU_DEP_1)
	v_min_i32_e32 v8, v8, v2
	s_and_saveexec_b32 s2, s4
	s_cbranch_execz .LBB6_346
; %bb.332:                              ;   in Loop: Header=BB6_314 Depth=3
	v_and_b32_e32 v2, 0x108, v30
	s_mov_b32 s4, s37
	s_mov_b32 s13, exec_lo
	s_delay_alu instid0(VALU_DEP_1)
	v_cmpx_ne_u32_e32 0x108, v2
	s_xor_b32 s13, exec_lo, s13
                                        ; implicit-def: $vgpr14_vgpr15
; %bb.333:                              ;   in Loop: Header=BB6_314 Depth=3
	v_and_b32_e32 v14, 7, v66
; %bb.334:                              ;   in Loop: Header=BB6_314 Depth=3
	s_and_not1_saveexec_b32 s13, s13
	s_cbranch_execz .LBB6_336
; %bb.335:                              ;   in Loop: Header=BB6_314 Depth=3
	v_and_b32_e32 v14, 7, v66
	v_ashrrev_i32_e32 v9, 31, v8
	s_delay_alu instid0(VALU_DEP_2) | instskip(NEXT) | instid1(VALU_DEP_2)
	v_mad_u64_u32 v[15:16], null, v14, 24, v[6:7]
	v_lshlrev_b64 v[17:18], 3, v[8:9]
	flat_store_b64 v[15:16], v[17:18] offset:8
.LBB6_336:                              ;   in Loop: Header=BB6_314 Depth=3
	s_or_b32 exec_lo, exec_lo, s13
	v_and_b32_e32 v2, 0x100, v30
	s_mov_b32 s13, -1
	s_mov_b32 s25, exec_lo
                                        ; implicit-def: $vgpr15_vgpr16
	s_delay_alu instid0(VALU_DEP_1)
	v_cmpx_ne_u32_e32 0, v2
	s_cbranch_execz .LBB6_341
; %bb.337:                              ;   in Loop: Header=BB6_314 Depth=3
	v_mad_u64_u32 v[17:18], null, v14, 24, v[6:7]
	s_mov_b32 s37, exec_lo
	s_delay_alu instid0(VALU_DEP_1) | instskip(NEXT) | instid1(VALU_DEP_1)
	v_mov_b32_e32 v2, v18
	v_mad_u64_u32 v[15:16], null, v3, 24, v[2:3]
	s_delay_alu instid0(VALU_DEP_1)
	v_mov_b32_e32 v18, v15
                                        ; implicit-def: $vgpr15_vgpr16
	flat_load_b32 v2, v[17:18]
	s_waitcnt vmcnt(0) lgkmcnt(0)
	v_cmp_ne_u32_e32 vcc_lo, 1, v2
	v_cmpx_eq_u32_e32 1, v2
	s_cbranch_execz .LBB6_339
; %bb.338:                              ;   in Loop: Header=BB6_314 Depth=3
	flat_load_b32 v15, v[17:18] offset:4 glc
	s_waitcnt vmcnt(0) lgkmcnt(0)
	v_ashrrev_i32_e32 v16, 31, v15
	s_delay_alu instid0(VALU_DEP_1)
	v_lshrrev_b64 v[15:16], 3, v[15:16]
.LBB6_339:                              ;   in Loop: Header=BB6_314 Depth=3
	s_or_b32 exec_lo, exec_lo, s37
	s_delay_alu instid0(SALU_CYCLE_1)
	s_or_not1_b32 s13, vcc_lo, exec_lo
	s_or_b32 exec_lo, exec_lo, s25
	s_and_saveexec_b32 s25, s13
	s_cbranch_execnz .LBB6_342
.LBB6_340:                              ;   in Loop: Header=BB6_314 Depth=3
	s_or_b32 exec_lo, exec_lo, s25
	s_cbranch_execz .LBB6_343
	s_branch .LBB6_1546
.LBB6_341:                              ;   in Loop: Header=BB6_314 Depth=3
	s_or_b32 exec_lo, exec_lo, s25
	s_and_saveexec_b32 s25, s13
	s_cbranch_execz .LBB6_340
.LBB6_342:                              ;   in Loop: Header=BB6_314 Depth=3
	v_mul_lo_u32 v2, v3, v145
	v_mul_lo_u32 v9, v14, v146
	v_mad_u64_u32 v[15:16], null, v14, v145, 0
	s_delay_alu instid0(VALU_DEP_1)
	v_add3_u32 v16, v16, v9, v2
	s_or_b32 exec_lo, exec_lo, s25
	s_cbranch_execnz .LBB6_1546
.LBB6_343:                              ;   in Loop: Header=BB6_314 Depth=3
	s_delay_alu instid0(VALU_DEP_1) | instskip(SKIP_2) | instid1(VALU_DEP_2)
	v_lshlrev_b64 v[14:15], 3, v[15:16]
	v_and_b32_e32 v2, 0x2000, v30
	s_mov_b32 s13, exec_lo
	v_add_co_u32 v14, vcc_lo, v68, v14
	s_delay_alu instid0(VALU_DEP_3)
	v_add_co_ci_u32_e32 v15, vcc_lo, v69, v15, vcc_lo
	ds_store_b64 v0, v[14:15]
	v_cmpx_ne_u32_e32 0, v2
	s_cbranch_execz .LBB6_345
; %bb.344:                              ;   in Loop: Header=BB6_314 Depth=3
	ds_load_b64 v[14:15], v0 offset:584
	s_waitcnt lgkmcnt(0)
	v_add_co_u32 v14, vcc_lo, v14, 1
	v_add_co_ci_u32_e32 v15, vcc_lo, 0, v15, vcc_lo
	ds_store_b64 v0, v[14:15] offset:584
.LBB6_345:                              ;   in Loop: Header=BB6_314 Depth=3
	s_or_b32 exec_lo, exec_lo, s13
	v_add_co_u32 v66, vcc_lo, v66, 2
	v_add_co_ci_u32_e32 v67, vcc_lo, 0, v67, vcc_lo
	s_mov_b32 s37, s4
.LBB6_346:                              ;   in Loop: Header=BB6_314 Depth=3
	s_or_b32 exec_lo, exec_lo, s2
	s_and_saveexec_b32 s2, s3
	s_cbranch_execz .LBB6_368
; %bb.347:                              ;   in Loop: Header=BB6_314 Depth=3
	v_mov_b32_e32 v9, 1
	s_mov_b32 s13, s37
	s_mov_b32 s4, s14
	s_and_saveexec_b32 s14, s41
	s_delay_alu instid0(SALU_CYCLE_1)
	s_xor_b32 s14, exec_lo, s14
	s_cbranch_execz .LBB6_365
; %bb.348:                              ;   in Loop: Header=BB6_314 Depth=3
	s_and_saveexec_b32 s25, s1
	s_cbranch_execz .LBB6_364
; %bb.349:                              ;   in Loop: Header=BB6_314 Depth=3
	s_mov_b32 s38, exec_lo
	s_mov_b32 s37, exec_lo
	v_mbcnt_lo_u32_b32 v2, s38, 0
	s_waitcnt lgkmcnt(0)
	s_waitcnt_vscnt null, 0x0
	buffer_gl1_inv
	buffer_gl0_inv
	v_cmpx_eq_u32_e32 0, v2
	s_cbranch_execz .LBB6_351
; %bb.350:                              ;   in Loop: Header=BB6_314 Depth=3
	s_bcnt1_i32_b32 vcc_lo, s38
	s_delay_alu instid0(SALU_CYCLE_1)
	v_mov_b32_e32 v2, vcc_lo
	ds_add_u64 v0, v[2:3]
	s_cbranch_execnz .LBB6_1656
.LBB6_351:                              ;   in Loop: Header=BB6_314 Depth=3
	s_or_b32 exec_lo, exec_lo, s37
	s_cbranch_execnz .LBB6_1622
; %bb.352:                              ;   in Loop: Header=BB6_314 Depth=3
	ds_load_b64 v[14:15], v0
	v_add_co_u32 v80, vcc_lo, v80, v147
	v_add_co_ci_u32_e32 v81, vcc_lo, 0, v81, vcc_lo
	s_mov_b32 s37, exec_lo
	s_waitcnt lgkmcnt(0)
	s_delay_alu instid0(VALU_DEP_1)
	v_cmpx_lt_u64_e64 v[14:15], v[80:81]
	s_cbranch_execz .LBB6_363
; %bb.353:                              ;   in Loop: Header=BB6_314 Depth=3
	s_mov_b32 s38, 0
	s_mov_b32 s42, 0
                                        ; implicit-def: $sgpr39
                                        ; implicit-def: $sgpr40
	s_branch .LBB6_355
.LBB6_354:                              ;   in Loop: Header=BB6_355 Depth=4
	s_or_b32 exec_lo, exec_lo, s44
	s_delay_alu instid0(SALU_CYCLE_1) | instskip(NEXT) | instid1(SALU_CYCLE_1)
	s_and_b32 vcc_lo, exec_lo, vcc_lo
	s_or_b32 s38, vcc_lo, s38
	s_and_not1_b32 vcc_lo, s39, exec_lo
	s_and_b32 s39, s40, exec_lo
	s_delay_alu instid0(SALU_CYCLE_1)
	s_or_b32 s39, vcc_lo, s39
	s_and_not1_b32 exec_lo, exec_lo, s38
	s_cbranch_execz .LBB6_361
.LBB6_355:                              ;   Parent Loop BB6_55 Depth=1
                                        ;     Parent Loop BB6_312 Depth=2
                                        ;       Parent Loop BB6_314 Depth=3
                                        ; =>      This Inner Loop Header: Depth=4
	s_add_i32 s42, s42, 1
                                        ; implicit-def: $sgpr44
	s_delay_alu instid0(SALU_CYCLE_1) | instskip(SKIP_1) | instid1(SALU_CYCLE_1)
	s_cmpk_lg_i32 s42, 0x2710
	s_cselect_b32 s43, -1, 0
	s_and_b32 vcc_lo, exec_lo, s43
	s_cbranch_vccz .LBB6_359
.LBB6_356:                              ;   in Loop: Header=BB6_355 Depth=4
	s_and_not1_b32 s40, s40, exec_lo
	s_and_b32 s44, s44, exec_lo
	s_mov_b32 vcc_lo, -1
	s_or_b32 s40, s40, s44
	s_and_saveexec_b32 s44, s43
	s_cbranch_execz .LBB6_354
; %bb.357:                              ;   in Loop: Header=BB6_355 Depth=4
	s_sleep 1
	s_cbranch_execnz .LBB6_1702
; %bb.358:                              ;   in Loop: Header=BB6_355 Depth=4
	ds_load_b64 v[14:15], v0
	s_and_not1_b32 s40, s40, exec_lo
	s_waitcnt lgkmcnt(0)
	v_cmp_ge_u64_e32 vcc_lo, v[14:15], v[80:81]
	s_or_not1_b32 vcc_lo, vcc_lo, exec_lo
	s_branch .LBB6_354
.LBB6_359:                              ;   in Loop: Header=BB6_355 Depth=4
	s_cbranch_execnz .LBB6_1714
; %bb.360:                              ;   in Loop: Header=BB6_355 Depth=4
	ds_load_b64 v[14:15], v0
	s_and_not1_b32 s43, s43, exec_lo
	s_mov_b32 s42, 0
	s_mov_b32 s44, -1
	s_waitcnt lgkmcnt(0)
	flat_load_b32 v2, v[14:15] glc
	s_waitcnt vmcnt(0) lgkmcnt(0)
	buffer_gl1_inv
	buffer_gl0_inv
	v_cmp_eq_u32_e32 vcc_lo, 0, v2
	s_and_b32 vcc_lo, vcc_lo, exec_lo
	s_delay_alu instid0(SALU_CYCLE_1)
	s_or_b32 s43, s43, vcc_lo
	s_branch .LBB6_356
.LBB6_361:                              ;   in Loop: Header=BB6_314 Depth=3
	s_or_b32 exec_lo, exec_lo, s38
	s_and_saveexec_b32 vcc_lo, s39
	s_delay_alu instid0(SALU_CYCLE_1)
	s_xor_b32 vcc_lo, exec_lo, vcc_lo
	s_cbranch_execz .LBB6_363
; %bb.362:                              ;   in Loop: Header=BB6_314 Depth=3
	ds_store_b32 v0, v9
	s_cbranch_execnz .LBB6_1910
.LBB6_363:                              ;   in Loop: Header=BB6_314 Depth=3
	s_or_b32 exec_lo, exec_lo, s37
	;;#ASMSTART
	s_wakeup
	;;#ASMEND
.LBB6_364:                              ;   in Loop: Header=BB6_314 Depth=3
	s_or_b32 exec_lo, exec_lo, s25
.LBB6_365:                              ;   in Loop: Header=BB6_314 Depth=3
	s_and_not1_saveexec_b32 s14, s14
	s_cbranch_execz .LBB6_367
; %bb.366:                              ;   in Loop: Header=BB6_314 Depth=3
	s_waitcnt lgkmcnt(0)
	s_waitcnt_vscnt null, 0x0
	buffer_gl1_inv
	buffer_gl0_inv
	s_barrier
.LBB6_367:                              ;   in Loop: Header=BB6_314 Depth=3
	s_or_b32 exec_lo, exec_lo, s14
	s_mov_b32 s14, s4
	s_mov_b32 s37, s13
.LBB6_368:                              ;   in Loop: Header=BB6_314 Depth=3
	v_mov_b32_e32 v9, 1
	s_mov_b32 s25, s37
	s_mov_b32 s37, s14
	s_or_b32 exec_lo, exec_lo, s2
	s_cbranch_execnz .LBB6_1525
; %bb.369:                              ;   in Loop: Header=BB6_314 Depth=3
	ds_load_b32 v14, v0
	v_and_b32_e32 v2, 0x4000, v30
	v_readlane_b32 s2, v74, 0
	s_delay_alu instid0(VALU_DEP_2) | instskip(NEXT) | instid1(VALU_DEP_2)
	v_cmp_ne_u32_e32 vcc_lo, 0, v2
	s_xor_b32 s2, s2, -1
	s_delay_alu instid0(SALU_CYCLE_1) | instskip(NEXT) | instid1(SALU_CYCLE_1)
	s_and_b32 s4, s2, vcc_lo
	s_and_saveexec_b32 s2, s4
	s_cbranch_execz .LBB6_391
; %bb.370:                              ;   in Loop: Header=BB6_314 Depth=3
	s_and_saveexec_b32 s4, s41
	s_delay_alu instid0(SALU_CYCLE_1)
	s_xor_b32 s4, exec_lo, s4
	s_cbranch_execz .LBB6_388
; %bb.371:                              ;   in Loop: Header=BB6_314 Depth=3
	s_and_saveexec_b32 s13, s1
	s_cbranch_execz .LBB6_387
; %bb.372:                              ;   in Loop: Header=BB6_314 Depth=3
	s_mov_b32 s38, exec_lo
	s_mov_b32 s14, exec_lo
	v_mbcnt_lo_u32_b32 v2, s38, 0
	s_waitcnt lgkmcnt(0)
	s_waitcnt_vscnt null, 0x0
	buffer_gl1_inv
	buffer_gl0_inv
	v_cmpx_eq_u32_e32 0, v2
	s_cbranch_execz .LBB6_374
; %bb.373:                              ;   in Loop: Header=BB6_314 Depth=3
	s_bcnt1_i32_b32 vcc_lo, s38
	s_delay_alu instid0(SALU_CYCLE_1)
	v_mov_b32_e32 v2, vcc_lo
	ds_add_u64 v0, v[2:3]
	s_cbranch_execnz .LBB6_1688
.LBB6_374:                              ;   in Loop: Header=BB6_314 Depth=3
	s_or_b32 exec_lo, exec_lo, s14
	s_cbranch_execnz .LBB6_1678
; %bb.375:                              ;   in Loop: Header=BB6_314 Depth=3
	ds_load_b64 v[15:16], v0
	v_add_co_u32 v80, vcc_lo, v80, v147
	v_add_co_ci_u32_e32 v81, vcc_lo, 0, v81, vcc_lo
	s_mov_b32 s14, exec_lo
	s_waitcnt lgkmcnt(0)
	s_delay_alu instid0(VALU_DEP_1)
	v_cmpx_lt_u64_e64 v[15:16], v[80:81]
	s_cbranch_execz .LBB6_386
; %bb.376:                              ;   in Loop: Header=BB6_314 Depth=3
	s_mov_b32 s38, 0
	s_mov_b32 s42, 0
                                        ; implicit-def: $sgpr39
                                        ; implicit-def: $sgpr40
	s_branch .LBB6_378
.LBB6_377:                              ;   in Loop: Header=BB6_378 Depth=4
	s_or_b32 exec_lo, exec_lo, s44
	s_delay_alu instid0(SALU_CYCLE_1) | instskip(NEXT) | instid1(SALU_CYCLE_1)
	s_and_b32 vcc_lo, exec_lo, vcc_lo
	s_or_b32 s38, vcc_lo, s38
	s_and_not1_b32 vcc_lo, s39, exec_lo
	s_and_b32 s39, s40, exec_lo
	s_delay_alu instid0(SALU_CYCLE_1)
	s_or_b32 s39, vcc_lo, s39
	s_and_not1_b32 exec_lo, exec_lo, s38
	s_cbranch_execz .LBB6_384
.LBB6_378:                              ;   Parent Loop BB6_55 Depth=1
                                        ;     Parent Loop BB6_312 Depth=2
                                        ;       Parent Loop BB6_314 Depth=3
                                        ; =>      This Inner Loop Header: Depth=4
	s_add_i32 s42, s42, 1
                                        ; implicit-def: $sgpr44
	s_delay_alu instid0(SALU_CYCLE_1) | instskip(SKIP_1) | instid1(SALU_CYCLE_1)
	s_cmpk_lg_i32 s42, 0x2710
	s_cselect_b32 s43, -1, 0
	s_and_b32 vcc_lo, exec_lo, s43
	s_cbranch_vccz .LBB6_382
.LBB6_379:                              ;   in Loop: Header=BB6_378 Depth=4
	s_and_not1_b32 s40, s40, exec_lo
	s_and_b32 s44, s44, exec_lo
	s_mov_b32 vcc_lo, -1
	s_or_b32 s40, s40, s44
	s_and_saveexec_b32 s44, s43
	s_cbranch_execz .LBB6_377
; %bb.380:                              ;   in Loop: Header=BB6_378 Depth=4
	s_sleep 1
	s_cbranch_execnz .LBB6_1754
; %bb.381:                              ;   in Loop: Header=BB6_378 Depth=4
	ds_load_b64 v[15:16], v0
	s_and_not1_b32 s40, s40, exec_lo
	s_waitcnt lgkmcnt(0)
	v_cmp_ge_u64_e32 vcc_lo, v[15:16], v[80:81]
	s_or_not1_b32 vcc_lo, vcc_lo, exec_lo
	s_branch .LBB6_377
.LBB6_382:                              ;   in Loop: Header=BB6_378 Depth=4
	s_cbranch_execnz .LBB6_1768
; %bb.383:                              ;   in Loop: Header=BB6_378 Depth=4
	ds_load_b64 v[15:16], v0
	s_and_not1_b32 s43, s43, exec_lo
	s_mov_b32 s42, 0
	s_mov_b32 s44, -1
	s_waitcnt lgkmcnt(0)
	flat_load_b32 v2, v[15:16] glc
	s_waitcnt vmcnt(0) lgkmcnt(0)
	buffer_gl1_inv
	buffer_gl0_inv
	v_cmp_eq_u32_e32 vcc_lo, 0, v2
	s_and_b32 vcc_lo, vcc_lo, exec_lo
	s_delay_alu instid0(SALU_CYCLE_1)
	s_or_b32 s43, s43, vcc_lo
	s_branch .LBB6_379
.LBB6_384:                              ;   in Loop: Header=BB6_314 Depth=3
	s_or_b32 exec_lo, exec_lo, s38
	s_and_saveexec_b32 vcc_lo, s39
	s_delay_alu instid0(SALU_CYCLE_1)
	s_xor_b32 vcc_lo, exec_lo, vcc_lo
	s_cbranch_execz .LBB6_386
; %bb.385:                              ;   in Loop: Header=BB6_314 Depth=3
	ds_store_b32 v0, v9
	s_cbranch_execnz .LBB6_1946
.LBB6_386:                              ;   in Loop: Header=BB6_314 Depth=3
	s_or_b32 exec_lo, exec_lo, s14
	;;#ASMSTART
	s_wakeup
	;;#ASMEND
.LBB6_387:                              ;   in Loop: Header=BB6_314 Depth=3
	s_or_b32 exec_lo, exec_lo, s13
.LBB6_388:                              ;   in Loop: Header=BB6_314 Depth=3
	s_and_not1_saveexec_b32 s4, s4
	s_cbranch_execz .LBB6_390
; %bb.389:                              ;   in Loop: Header=BB6_314 Depth=3
	s_waitcnt lgkmcnt(0)
	s_waitcnt_vscnt null, 0x0
	buffer_gl1_inv
	buffer_gl0_inv
	s_barrier
.LBB6_390:                              ;   in Loop: Header=BB6_314 Depth=3
	s_or_b32 exec_lo, exec_lo, s4
.LBB6_391:                              ;   in Loop: Header=BB6_314 Depth=3
	s_delay_alu instid0(SALU_CYCLE_1)
	s_or_b32 exec_lo, exec_lo, s2
	s_cbranch_execnz .LBB6_1568
; %bb.392:                              ;   in Loop: Header=BB6_314 Depth=3
	ds_load_b64 v[15:16], v0
	v_mov_b32_e32 v11, 0
	s_waitcnt lgkmcnt(0)
	v_cmp_eq_u64_e32 vcc_lo, 0, v[15:16]
	s_or_b32 s2, vcc_lo, vcc_lo
	s_delay_alu instid0(SALU_CYCLE_1)
	s_and_b32 vcc_lo, exec_lo, s2
	s_cbranch_vccnz .LBB6_427
; %bb.393:                              ;   in Loop: Header=BB6_314 Depth=3
	s_mov_b32 s2, -1
	s_and_saveexec_b32 s4, s12
	s_cbranch_execz .LBB6_395
; %bb.394:                              ;   in Loop: Header=BB6_314 Depth=3
	ds_load_b32 v2, v0 offset:720
	s_waitcnt lgkmcnt(0)
	v_and_b32_e32 v2, 15, v2
	s_delay_alu instid0(VALU_DEP_1)
	v_cmp_eq_u32_e32 vcc_lo, 0, v2
	s_or_not1_b32 s2, vcc_lo, exec_lo
.LBB6_395:                              ;   in Loop: Header=BB6_314 Depth=3
	s_or_b32 exec_lo, exec_lo, s4
	s_and_saveexec_b32 s4, s10
	s_cbranch_execz .LBB6_397
; %bb.396:                              ;   in Loop: Header=BB6_314 Depth=3
	ds_load_b32 v2, v0 offset:784
	s_waitcnt lgkmcnt(0)
	v_and_b32_e32 v2, 15, v2
	s_delay_alu instid0(VALU_DEP_1) | instskip(SKIP_3) | instid1(SALU_CYCLE_1)
	v_cmp_eq_u32_e32 vcc_lo, 0, v2
	s_and_b32 s13, s2, vcc_lo
	s_and_not1_b32 s2, s2, exec_lo
	s_and_b32 s13, s13, exec_lo
	s_or_b32 s2, s2, s13
.LBB6_397:                              ;   in Loop: Header=BB6_314 Depth=3
	s_or_b32 exec_lo, exec_lo, s4
	v_cmp_eq_u32_e32 vcc_lo, 0, v14
	s_xor_b32 s2, s2, -1
	s_mov_b32 s4, -1
	v_cndmask_b32_e64 v2, 0, 1, s2
	;;#ASMSTART
	;;#ASMEND
	v_cndmask_b32_e32 v11, 0, v8, vcc_lo
	s_delay_alu instid0(VALU_DEP_2) | instskip(NEXT) | instid1(VALU_DEP_2)
	v_cmp_ne_u32_e32 vcc_lo, 0, v2
	v_dual_mov_b32 v21, 0 :: v_dual_lshlrev_b32 v2, 3, v11
	s_cbranch_vccz .LBB6_399
; %bb.398:                              ;   in Loop: Header=BB6_314 Depth=3
	v_mov_b32_e32 v22, v149
	v_mov_b32_e32 v14, v148
	s_branch .LBB6_414
.LBB6_399:                              ;   in Loop: Header=BB6_314 Depth=3
	s_delay_alu instid0(VALU_DEP_1) | instskip(SKIP_1) | instid1(VALU_DEP_1)
	v_ashrrev_i32_e32 v14, 31, v2
	s_mov_b32 s2, exec_lo
	v_lshrrev_b32_e32 v14, 21, v14
	s_delay_alu instid0(VALU_DEP_1) | instskip(NEXT) | instid1(VALU_DEP_1)
	v_add_nc_u32_e32 v14, v2, v14
	v_ashrrev_i32_e32 v21, 11, v14
	s_delay_alu instid0(VALU_DEP_1) | instskip(NEXT) | instid1(VALU_DEP_1)
	v_sub_nc_u32_e32 v24, v21, v148
	v_cmpx_lt_i32_e32 0, v24
	s_cbranch_execz .LBB6_404
; %bb.400:                              ;   in Loop: Header=BB6_314 Depth=3
	s_cbranch_execnz .LBB6_1718
; %bb.401:                              ;   in Loop: Header=BB6_314 Depth=3
	ds_load_b128 v[14:17], v0
	ds_load_b64 v[18:19], v0
	s_mov_b32 s4, 0
	s_waitcnt lgkmcnt(1)
	v_add_co_u32 v14, vcc_lo, v14, v182
	v_add_co_ci_u32_e32 v15, vcc_lo, v15, v183, vcc_lo
	v_add_co_u32 v16, vcc_lo, v16, v182
	v_add_co_ci_u32_e32 v17, vcc_lo, v17, v183, vcc_lo
	s_waitcnt lgkmcnt(0)
	v_add_co_u32 v18, vcc_lo, v18, v182
	v_add_co_ci_u32_e32 v19, vcc_lo, v19, v183, vcc_lo
.LBB6_402:                              ;   Parent Loop BB6_55 Depth=1
                                        ;     Parent Loop BB6_312 Depth=2
                                        ;       Parent Loop BB6_314 Depth=3
                                        ; =>      This Inner Loop Header: Depth=4
	global_load_b128 v[32:35], v[16:17], off slc dlc
	s_clause 0x1
	global_load_b128 v[36:39], v[14:15], off slc dlc
	global_load_b128 v[48:51], v[14:15], off offset:512 slc dlc
	s_clause 0x1
	global_load_b128 v[112:115], v[16:17], off offset:512 slc dlc
	global_load_b128 v[128:131], v[16:17], off offset:1024 slc dlc
	s_clause 0x1
	global_load_b128 v[132:135], v[14:15], off offset:1024 slc dlc
	global_load_b128 v[41:44], v[14:15], off offset:1536 slc dlc
	;; [unrolled: 1-line block ×3, first 2 shown]
	v_mov_b32_e32 v22, v40
	v_mov_b32_e32 v23, v116
	v_sub_nc_u32_e32 v24, v24, v147
	s_delay_alu instid0(VALU_DEP_3) | instskip(NEXT) | instid1(VALU_DEP_3)
	v_add_co_u32 v14, vcc_lo, v14, v22
	v_add_co_ci_u32_e32 v15, vcc_lo, v15, v23, vcc_lo
	v_add_co_u32 v16, vcc_lo, v16, v22
	v_add_co_ci_u32_e32 v17, vcc_lo, v17, v23, vcc_lo
	v_cmp_gt_i32_e32 vcc_lo, 1, v24
	s_or_b32 s4, vcc_lo, s4
	s_waitcnt vmcnt(6)
	v_add_co_u32 v32, s13, v32, v36
	s_delay_alu instid0(VALU_DEP_1) | instskip(SKIP_1) | instid1(VALU_DEP_1)
	v_add_co_ci_u32_e64 v33, s13, v33, v37, s13
	v_add_co_u32 v34, s13, v34, v38
	v_add_co_ci_u32_e64 v35, s13, v35, v39, s13
	s_waitcnt vmcnt(4)
	v_add_co_u32 v36, s13, v112, v48
	s_delay_alu instid0(VALU_DEP_1) | instskip(SKIP_1) | instid1(VALU_DEP_1)
	v_add_co_ci_u32_e64 v37, s13, v113, v49, s13
	v_add_co_u32 v38, s13, v114, v50
	v_add_co_ci_u32_e64 v39, s13, v115, v51, s13
	s_waitcnt vmcnt(2)
	v_add_co_u32 v48, s13, v128, v132
	s_delay_alu instid0(VALU_DEP_1) | instskip(SKIP_1) | instid1(VALU_DEP_1)
	v_add_co_ci_u32_e64 v49, s13, v129, v133, s13
	v_add_co_u32 v50, s13, v130, v134
	v_add_co_ci_u32_e64 v51, s13, v131, v135, s13
	s_waitcnt vmcnt(0)
	v_add_co_u32 v112, s13, v56, v41
	s_delay_alu instid0(VALU_DEP_1) | instskip(SKIP_1) | instid1(VALU_DEP_1)
	v_add_co_ci_u32_e64 v113, s13, v57, v42, s13
	v_add_co_u32 v114, s13, v58, v43
	v_add_co_ci_u32_e64 v115, s13, v59, v44, s13
	s_clause 0x3
	global_store_b128 v[18:19], v[32:35], off glc slc dlc
	global_store_b128 v[18:19], v[36:39], off offset:512 glc slc dlc
	global_store_b128 v[18:19], v[48:51], off offset:1024 glc slc dlc
	;; [unrolled: 1-line block ×3, first 2 shown]
	v_add_co_u32 v18, s13, v18, v22
	s_delay_alu instid0(VALU_DEP_1)
	v_add_co_ci_u32_e64 v19, s13, v19, v23, s13
	s_and_not1_b32 exec_lo, exec_lo, s4
	s_cbranch_execnz .LBB6_402
; %bb.403:                              ;   in Loop: Header=BB6_314 Depth=3
	s_or_b32 exec_lo, exec_lo, s4
.LBB6_404:                              ;   in Loop: Header=BB6_314 Depth=3
	s_delay_alu instid0(SALU_CYCLE_1) | instskip(SKIP_4) | instid1(VALU_DEP_2)
	s_or_b32 exec_lo, exec_lo, s2
	v_lshlrev_b32_e32 v23, 11, v21
	v_mov_b32_e32 v21, 0
	s_mov_b32 s4, 0
	s_mov_b32 s2, exec_lo
                                        ; implicit-def: $vgpr22
                                        ; implicit-def: $vgpr14
	v_cmpx_ne_u32_e64 v2, v23
	s_cbranch_execz .LBB6_413
; %bb.405:                              ;   in Loop: Header=BB6_314 Depth=3
	v_lshlrev_b32_e32 v14, 5, v24
	v_sub_nc_u32_e32 v16, v2, v23
	s_mov_b32 s4, exec_lo
	s_delay_alu instid0(VALU_DEP_2) | instskip(NEXT) | instid1(VALU_DEP_2)
	v_sub_nc_u32_e32 v14, v149, v14
	v_ashrrev_i32_e32 v17, 31, v16
	s_delay_alu instid0(VALU_DEP_2) | instskip(NEXT) | instid1(VALU_DEP_2)
	v_ashrrev_i32_e32 v15, 31, v14
	v_lshrrev_b32_e32 v17, 23, v17
	s_delay_alu instid0(VALU_DEP_2) | instskip(NEXT) | instid1(VALU_DEP_2)
	v_lshrrev_b32_e32 v15, 27, v15
	v_add_nc_u32_e32 v17, v16, v17
	s_delay_alu instid0(VALU_DEP_2) | instskip(NEXT) | instid1(VALU_DEP_2)
	v_add_nc_u32_e32 v15, v14, v15
	v_and_b32_e32 v24, 0xfffffe00, v17
	v_ashrrev_i32_e32 v17, 9, v17
	s_delay_alu instid0(VALU_DEP_3) | instskip(NEXT) | instid1(VALU_DEP_3)
	v_and_b32_e32 v18, 0xffffffe0, v15
	v_sub_nc_u32_e32 v26, v16, v24
	v_ashrrev_i32_e32 v15, 5, v15
	s_delay_alu instid0(VALU_DEP_3) | instskip(NEXT) | instid1(VALU_DEP_3)
	v_sub_nc_u32_e32 v25, v14, v18
	v_cmp_lt_i32_e32 vcc_lo, 15, v26
	s_delay_alu instid0(VALU_DEP_2) | instskip(SKIP_1) | instid1(VALU_DEP_2)
	v_lshlrev_b32_e32 v14, 4, v25
	v_add_co_ci_u32_e64 v17, s13, 0, v17, vcc_lo
	v_lshl_add_u32 v14, v15, 9, v14
	s_delay_alu instid0(VALU_DEP_2) | instskip(NEXT) | instid1(VALU_DEP_2)
	v_sub_nc_u32_e32 v27, v17, v15
	v_sub_nc_u32_e32 v21, v16, v14
	s_delay_alu instid0(VALU_DEP_1)
	v_cmpx_lt_i32_e32 15, v21
	s_cbranch_execz .LBB6_410
; %bb.406:                              ;   in Loop: Header=BB6_314 Depth=3
	s_cbranch_execnz .LBB6_1784
; %bb.407:                              ;   in Loop: Header=BB6_314 Depth=3
	ds_load_b128 v[15:18], v0
	ds_load_b64 v[32:33], v0
	v_add_nc_u32_e32 v19, v14, v23
	s_mov_b32 s38, 0
	s_delay_alu instid0(VALU_DEP_1) | instskip(SKIP_2) | instid1(VALU_DEP_1)
	v_ashrrev_i32_e32 v22, 31, v19
	s_waitcnt lgkmcnt(1)
	v_add_co_u32 v14, s13, v15, v19
	v_add_co_ci_u32_e64 v15, s13, v16, v22, s13
	v_add_co_u32 v16, s13, v17, v19
	s_delay_alu instid0(VALU_DEP_1) | instskip(SKIP_2) | instid1(VALU_DEP_1)
	v_add_co_ci_u32_e64 v17, s13, v18, v22, s13
	s_waitcnt lgkmcnt(0)
	v_add_co_u32 v18, s13, v32, v19
	v_add_co_ci_u32_e64 v19, s13, v33, v22, s13
	s_set_inst_prefetch_distance 0x1
.LBB6_408:                              ;   Parent Loop BB6_55 Depth=1
                                        ;     Parent Loop BB6_312 Depth=2
                                        ;       Parent Loop BB6_314 Depth=3
                                        ; =>      This Inner Loop Header: Depth=4
	global_load_b128 v[32:35], v[14:15], off slc dlc
	global_load_b128 v[36:39], v[16:17], off slc dlc
	v_add_co_u32 v14, s13, v14, v166
	v_sub_nc_u32_e32 v21, v21, v151
	v_add_co_ci_u32_e64 v15, s13, v15, v167, s13
	v_add_co_u32 v16, s13, v16, v166
	s_delay_alu instid0(VALU_DEP_1) | instskip(NEXT) | instid1(VALU_DEP_4)
	v_add_co_ci_u32_e64 v17, s13, v17, v167, s13
	v_cmp_gt_i32_e64 s13, 16, v21
	v_sub_nc_u32_e32 v27, v27, v147
	s_delay_alu instid0(VALU_DEP_2) | instskip(SKIP_2) | instid1(VALU_DEP_1)
	s_or_b32 s38, s13, s38
	s_waitcnt vmcnt(0)
	v_add_co_u32 v32, s14, v36, v32
	v_add_co_ci_u32_e64 v33, s14, v37, v33, s14
	v_add_co_u32 v34, s14, v38, v34
	s_delay_alu instid0(VALU_DEP_1) | instskip(SKIP_2) | instid1(VALU_DEP_1)
	v_add_co_ci_u32_e64 v35, s14, v39, v35, s14
	global_store_b128 v[18:19], v[32:35], off glc slc dlc
	v_add_co_u32 v18, s14, v18, v166
	v_add_co_ci_u32_e64 v19, s14, v19, v167, s14
	s_and_not1_b32 exec_lo, exec_lo, s38
	s_cbranch_execnz .LBB6_408
; %bb.409:                              ;   in Loop: Header=BB6_314 Depth=3
	s_set_inst_prefetch_distance 0x2
	s_or_b32 exec_lo, exec_lo, s38
.LBB6_410:                              ;   in Loop: Header=BB6_314 Depth=3
	s_delay_alu instid0(SALU_CYCLE_1) | instskip(SKIP_3) | instid1(VALU_DEP_1)
	s_or_b32 exec_lo, exec_lo, s4
	v_and_b32_e32 v15, 8, v2
	s_mov_b32 s4, 0
	s_mov_b32 s14, exec_lo
                                        ; implicit-def: $vgpr22
                                        ; implicit-def: $vgpr14
	v_dual_mov_b32 v21, 0 :: v_dual_cndmask_b32 v2, v26, v15
	s_delay_alu instid0(VALU_DEP_1)
	v_cmpx_ne_u32_e32 0, v2
	s_cbranch_execz .LBB6_412
; %bb.411:                              ;   in Loop: Header=BB6_314 Depth=3
	v_cmp_lt_i32_e64 s13, 0, v27
	v_sub_nc_u32_e32 v15, v26, v15
	s_mov_b32 s4, exec_lo
	s_delay_alu instid0(VALU_DEP_2) | instskip(NEXT) | instid1(VALU_DEP_2)
	v_cndmask_b32_e64 v14, 0, v147, s13
	v_cndmask_b32_e32 v15, 0, v15, vcc_lo
	s_delay_alu instid0(VALU_DEP_2) | instskip(NEXT) | instid1(VALU_DEP_2)
	v_sub_nc_u32_e32 v14, v14, v27
	v_add3_u32 v21, v24, v23, v15
	s_delay_alu instid0(VALU_DEP_2) | instskip(NEXT) | instid1(VALU_DEP_1)
	v_lshl_add_u32 v16, v14, 5, v25
	v_ashrrev_i32_e32 v14, 31, v16
	s_delay_alu instid0(VALU_DEP_1) | instskip(NEXT) | instid1(VALU_DEP_1)
	v_lshrrev_b32_e32 v14, 27, v14
	v_add_nc_u32_e32 v14, v16, v14
	s_delay_alu instid0(VALU_DEP_1) | instskip(SKIP_1) | instid1(VALU_DEP_2)
	v_and_b32_e32 v17, 0xffffffe0, v14
	v_ashrrev_i32_e32 v14, 5, v14
	v_sub_nc_u32_e32 v22, v16, v17
.LBB6_412:                              ;   in Loop: Header=BB6_314 Depth=3
	s_or_b32 exec_lo, exec_lo, s14
	s_delay_alu instid0(SALU_CYCLE_1)
	s_and_b32 s4, s4, exec_lo
.LBB6_413:                              ;   in Loop: Header=BB6_314 Depth=3
	s_or_b32 exec_lo, exec_lo, s2
.LBB6_414:                              ;   in Loop: Header=BB6_314 Depth=3
	s_and_saveexec_b32 s2, s4
	s_cbranch_execz .LBB6_426
; %bb.415:                              ;   in Loop: Header=BB6_314 Depth=3
	v_ashrrev_i32_e32 v15, 31, v2
	s_mov_b32 s4, exec_lo
	s_delay_alu instid0(VALU_DEP_1) | instskip(NEXT) | instid1(VALU_DEP_1)
	v_lshrrev_b32_e32 v15, 22, v15
	v_add_nc_u32_e32 v15, v2, v15
	s_delay_alu instid0(VALU_DEP_1) | instskip(NEXT) | instid1(VALU_DEP_1)
	v_ashrrev_i32_e32 v24, 10, v15
	v_sub_nc_u32_e32 v23, v24, v14
	s_delay_alu instid0(VALU_DEP_1)
	v_cmpx_lt_i32_e32 0, v23
	s_cbranch_execz .LBB6_420
; %bb.416:                              ;   in Loop: Header=BB6_314 Depth=3
	s_cbranch_execnz .LBB6_1708
; %bb.417:                              ;   in Loop: Header=BB6_314 Depth=3
	ds_load_b128 v[15:18], v0
	ds_load_b64 v[25:26], v0
	v_lshlrev_b32_e32 v19, 3, v22
	v_lshlrev_b32_e32 v14, 10, v14
	s_mov_b32 s14, 0
	s_delay_alu instid0(VALU_DEP_1) | instskip(NEXT) | instid1(VALU_DEP_1)
	v_add3_u32 v19, v21, v19, v14
	v_ashrrev_i32_e32 v27, 31, v19
	s_waitcnt lgkmcnt(1)
	v_add_co_u32 v14, vcc_lo, v15, v19
	s_delay_alu instid0(VALU_DEP_2)
	v_add_co_ci_u32_e32 v15, vcc_lo, v16, v27, vcc_lo
	v_add_co_u32 v16, vcc_lo, v17, v19
	v_add_co_ci_u32_e32 v17, vcc_lo, v18, v27, vcc_lo
	s_waitcnt lgkmcnt(0)
	v_add_co_u32 v18, vcc_lo, v25, v19
	v_add_co_ci_u32_e32 v19, vcc_lo, v26, v27, vcc_lo
.LBB6_418:                              ;   Parent Loop BB6_55 Depth=1
                                        ;     Parent Loop BB6_312 Depth=2
                                        ;       Parent Loop BB6_314 Depth=3
                                        ; =>      This Inner Loop Header: Depth=4
	flat_load_b64 v[25:26], v[16:17] slc dlc
	s_clause 0x1
	flat_load_b64 v[32:33], v[14:15] slc dlc
	flat_load_b64 v[34:35], v[14:15] offset:256 slc dlc
	s_clause 0x1
	flat_load_b64 v[36:37], v[16:17] offset:256 slc dlc
	flat_load_b64 v[38:39], v[16:17] offset:512 slc dlc
	s_clause 0x1
	flat_load_b64 v[48:49], v[14:15] offset:512 slc dlc
	flat_load_b64 v[50:51], v[14:15] offset:768 slc dlc
	;; [unrolled: 1-line block ×3, first 2 shown]
	v_add_co_u32 v14, vcc_lo, v14, v177
	v_sub_nc_u32_e32 v23, v23, v147
	v_add_co_ci_u32_e32 v15, vcc_lo, v15, v178, vcc_lo
	v_add_co_u32 v16, vcc_lo, v16, v177
	v_add_co_ci_u32_e32 v17, vcc_lo, v17, v178, vcc_lo
	s_delay_alu instid0(VALU_DEP_4) | instskip(SKIP_3) | instid1(VALU_DEP_1)
	v_cmp_gt_i32_e32 vcc_lo, 1, v23
	s_or_b32 s14, vcc_lo, s14
	s_waitcnt vmcnt(6) lgkmcnt(6)
	v_add_co_u32 v25, s13, v25, v32
	v_add_co_ci_u32_e64 v26, s13, v26, v33, s13
	s_waitcnt vmcnt(4) lgkmcnt(4)
	v_add_co_u32 v32, s13, v36, v34
	s_delay_alu instid0(VALU_DEP_1) | instskip(SKIP_2) | instid1(VALU_DEP_1)
	v_add_co_ci_u32_e64 v33, s13, v37, v35, s13
	s_waitcnt vmcnt(2) lgkmcnt(2)
	v_add_co_u32 v34, s13, v38, v48
	v_add_co_ci_u32_e64 v35, s13, v39, v49, s13
	s_waitcnt vmcnt(0) lgkmcnt(0)
	v_add_co_u32 v36, s13, v102, v50
	s_delay_alu instid0(VALU_DEP_1)
	v_add_co_ci_u32_e64 v37, s13, v103, v51, s13
	s_clause 0x3
	flat_store_b64 v[18:19], v[25:26] glc slc dlc
	flat_store_b64 v[18:19], v[32:33] offset:256 glc slc dlc
	flat_store_b64 v[18:19], v[34:35] offset:512 glc slc dlc
	;; [unrolled: 1-line block ×3, first 2 shown]
	v_add_co_u32 v18, s13, v18, v177
	s_delay_alu instid0(VALU_DEP_1)
	v_add_co_ci_u32_e64 v19, s13, v19, v178, s13
	s_and_not1_b32 exec_lo, exec_lo, s14
	s_cbranch_execnz .LBB6_418
; %bb.419:                              ;   in Loop: Header=BB6_314 Depth=3
	s_or_b32 exec_lo, exec_lo, s14
.LBB6_420:                              ;   in Loop: Header=BB6_314 Depth=3
	s_delay_alu instid0(SALU_CYCLE_1) | instskip(SKIP_2) | instid1(VALU_DEP_1)
	s_or_b32 exec_lo, exec_lo, s4
	v_lshlrev_b32_e32 v14, 10, v24
	s_mov_b32 s4, exec_lo
	v_cmpx_ne_u32_e64 v2, v14
	s_cbranch_execz .LBB6_425
; %bb.421:                              ;   in Loop: Header=BB6_314 Depth=3
	v_lshlrev_b32_e32 v15, 5, v23
	s_delay_alu instid0(VALU_DEP_1) | instskip(NEXT) | instid1(VALU_DEP_1)
	v_sub_nc_u32_e32 v15, v22, v15
	v_ashrrev_i32_e32 v16, 31, v15
	s_delay_alu instid0(VALU_DEP_1) | instskip(NEXT) | instid1(VALU_DEP_1)
	v_lshrrev_b32_e32 v16, 27, v16
	v_add_nc_u32_e32 v16, v15, v16
	s_delay_alu instid0(VALU_DEP_1) | instskip(SKIP_1) | instid1(VALU_DEP_2)
	v_and_b32_e32 v17, 0x1fffffe0, v16
	v_lshlrev_b32_e32 v16, 3, v16
	v_sub_nc_u32_e32 v15, v15, v17
	s_delay_alu instid0(VALU_DEP_2) | instskip(NEXT) | instid1(VALU_DEP_2)
	v_and_b32_e32 v16, 0xffffff00, v16
	v_lshlrev_b32_e32 v15, 3, v15
	s_delay_alu instid0(VALU_DEP_1) | instskip(NEXT) | instid1(VALU_DEP_1)
	v_add3_u32 v14, v16, v15, v14
	v_sub_nc_u32_e32 v2, v2, v14
	s_delay_alu instid0(VALU_DEP_1)
	v_cmp_lt_i32_e32 vcc_lo, 7, v2
	s_and_b32 exec_lo, exec_lo, vcc_lo
	s_cbranch_execz .LBB6_425
; %bb.422:                              ;   in Loop: Header=BB6_314 Depth=3
	s_cbranch_execnz .LBB6_1776
; %bb.423:                              ;   in Loop: Header=BB6_314 Depth=3
	ds_load_b128 v[15:18], v0
	ds_load_b64 v[22:23], v0
	v_add_nc_u32_e32 v19, v14, v21
	s_mov_b32 s14, 0
	s_delay_alu instid0(VALU_DEP_1) | instskip(SKIP_2) | instid1(VALU_DEP_2)
	v_ashrrev_i32_e32 v21, 31, v19
	s_waitcnt lgkmcnt(1)
	v_add_co_u32 v14, vcc_lo, v15, v19
	v_add_co_ci_u32_e32 v15, vcc_lo, v16, v21, vcc_lo
	v_add_co_u32 v16, vcc_lo, v17, v19
	v_add_co_ci_u32_e32 v17, vcc_lo, v18, v21, vcc_lo
	s_waitcnt lgkmcnt(0)
	v_add_co_u32 v18, vcc_lo, v22, v19
	v_add_co_ci_u32_e32 v19, vcc_lo, v23, v21, vcc_lo
.LBB6_424:                              ;   Parent Loop BB6_55 Depth=1
                                        ;     Parent Loop BB6_312 Depth=2
                                        ;       Parent Loop BB6_314 Depth=3
                                        ; =>      This Inner Loop Header: Depth=4
	flat_load_b64 v[21:22], v[14:15] slc dlc
	flat_load_b64 v[23:24], v[16:17] slc dlc
	v_add_co_u32 v14, vcc_lo, v14, v180
	v_sub_nc_u32_e32 v2, v2, v165
	v_add_co_ci_u32_e32 v15, vcc_lo, v15, v181, vcc_lo
	v_add_co_u32 v16, vcc_lo, v16, v180
	v_add_co_ci_u32_e32 v17, vcc_lo, v17, v181, vcc_lo
	s_delay_alu instid0(VALU_DEP_4) | instskip(SKIP_3) | instid1(VALU_DEP_1)
	v_cmp_gt_i32_e32 vcc_lo, 8, v2
	s_or_b32 s14, vcc_lo, s14
	s_waitcnt vmcnt(0) lgkmcnt(0)
	v_add_co_u32 v21, s13, v23, v21
	v_add_co_ci_u32_e64 v22, s13, v24, v22, s13
	flat_store_b64 v[18:19], v[21:22] glc slc dlc
	v_add_co_u32 v18, s13, v18, v180
	s_delay_alu instid0(VALU_DEP_1)
	v_add_co_ci_u32_e64 v19, s13, v19, v181, s13
	s_and_not1_b32 exec_lo, exec_lo, s14
	s_cbranch_execnz .LBB6_424
.LBB6_425:                              ;   in Loop: Header=BB6_314 Depth=3
	s_or_b32 exec_lo, exec_lo, s4
.LBB6_426:                              ;   in Loop: Header=BB6_314 Depth=3
	s_delay_alu instid0(SALU_CYCLE_1)
	s_or_b32 exec_lo, exec_lo, s2
.LBB6_427:                              ;   in Loop: Header=BB6_314 Depth=3
	s_and_saveexec_b32 s2, s3
	s_cbranch_execz .LBB6_449
; %bb.428:                              ;   in Loop: Header=BB6_314 Depth=3
	s_and_saveexec_b32 s4, s41
	s_delay_alu instid0(SALU_CYCLE_1)
	s_xor_b32 s4, exec_lo, s4
	s_cbranch_execz .LBB6_446
; %bb.429:                              ;   in Loop: Header=BB6_314 Depth=3
	s_and_saveexec_b32 s13, s1
	s_cbranch_execz .LBB6_445
; %bb.430:                              ;   in Loop: Header=BB6_314 Depth=3
	s_mov_b32 s38, exec_lo
	s_mov_b32 s14, exec_lo
	v_mbcnt_lo_u32_b32 v2, s38, 0
	s_waitcnt lgkmcnt(0)
	s_waitcnt_vscnt null, 0x0
	buffer_gl1_inv
	buffer_gl0_inv
	v_cmpx_eq_u32_e32 0, v2
	s_cbranch_execz .LBB6_432
; %bb.431:                              ;   in Loop: Header=BB6_314 Depth=3
	s_bcnt1_i32_b32 vcc_lo, s38
	s_delay_alu instid0(SALU_CYCLE_1)
	v_mov_b32_e32 v2, vcc_lo
	ds_add_u64 v0, v[2:3]
	s_cbranch_execnz .LBB6_1756
.LBB6_432:                              ;   in Loop: Header=BB6_314 Depth=3
	s_or_b32 exec_lo, exec_lo, s14
	s_cbranch_execnz .LBB6_1732
; %bb.433:                              ;   in Loop: Header=BB6_314 Depth=3
	ds_load_b64 v[14:15], v0
	v_add_co_u32 v80, vcc_lo, v80, v147
	v_add_co_ci_u32_e32 v81, vcc_lo, 0, v81, vcc_lo
	s_mov_b32 s14, exec_lo
	s_waitcnt lgkmcnt(0)
	s_delay_alu instid0(VALU_DEP_1)
	v_cmpx_lt_u64_e64 v[14:15], v[80:81]
	s_cbranch_execz .LBB6_444
; %bb.434:                              ;   in Loop: Header=BB6_314 Depth=3
	s_mov_b32 s38, 0
	s_mov_b32 s42, 0
                                        ; implicit-def: $sgpr39
                                        ; implicit-def: $sgpr40
	s_branch .LBB6_436
.LBB6_435:                              ;   in Loop: Header=BB6_436 Depth=4
	s_or_b32 exec_lo, exec_lo, s44
	s_delay_alu instid0(SALU_CYCLE_1) | instskip(NEXT) | instid1(SALU_CYCLE_1)
	s_and_b32 vcc_lo, exec_lo, vcc_lo
	s_or_b32 s38, vcc_lo, s38
	s_and_not1_b32 vcc_lo, s39, exec_lo
	s_and_b32 s39, s40, exec_lo
	s_delay_alu instid0(SALU_CYCLE_1)
	s_or_b32 s39, vcc_lo, s39
	s_and_not1_b32 exec_lo, exec_lo, s38
	s_cbranch_execz .LBB6_442
.LBB6_436:                              ;   Parent Loop BB6_55 Depth=1
                                        ;     Parent Loop BB6_312 Depth=2
                                        ;       Parent Loop BB6_314 Depth=3
                                        ; =>      This Inner Loop Header: Depth=4
	s_add_i32 s42, s42, 1
                                        ; implicit-def: $sgpr44
	s_delay_alu instid0(SALU_CYCLE_1) | instskip(SKIP_1) | instid1(SALU_CYCLE_1)
	s_cmpk_lg_i32 s42, 0x2710
	s_cselect_b32 s43, -1, 0
	s_and_b32 vcc_lo, exec_lo, s43
	s_cbranch_vccz .LBB6_440
.LBB6_437:                              ;   in Loop: Header=BB6_436 Depth=4
	s_and_not1_b32 s40, s40, exec_lo
	s_and_b32 s44, s44, exec_lo
	s_mov_b32 vcc_lo, -1
	s_or_b32 s40, s40, s44
	s_and_saveexec_b32 s44, s43
	s_cbranch_execz .LBB6_435
; %bb.438:                              ;   in Loop: Header=BB6_436 Depth=4
	s_sleep 1
	s_cbranch_execnz .LBB6_1810
; %bb.439:                              ;   in Loop: Header=BB6_436 Depth=4
	ds_load_b64 v[14:15], v0
	s_and_not1_b32 s40, s40, exec_lo
	s_waitcnt lgkmcnt(0)
	v_cmp_ge_u64_e32 vcc_lo, v[14:15], v[80:81]
	s_or_not1_b32 vcc_lo, vcc_lo, exec_lo
	s_branch .LBB6_435
.LBB6_440:                              ;   in Loop: Header=BB6_436 Depth=4
	s_cbranch_execnz .LBB6_1824
; %bb.441:                              ;   in Loop: Header=BB6_436 Depth=4
	ds_load_b64 v[14:15], v0
	s_and_not1_b32 s43, s43, exec_lo
	s_mov_b32 s42, 0
	s_mov_b32 s44, -1
	s_waitcnt lgkmcnt(0)
	flat_load_b32 v2, v[14:15] glc
	s_waitcnt vmcnt(0) lgkmcnt(0)
	buffer_gl1_inv
	buffer_gl0_inv
	v_cmp_eq_u32_e32 vcc_lo, 0, v2
	s_and_b32 vcc_lo, vcc_lo, exec_lo
	s_delay_alu instid0(SALU_CYCLE_1)
	s_or_b32 s43, s43, vcc_lo
	s_branch .LBB6_437
.LBB6_442:                              ;   in Loop: Header=BB6_314 Depth=3
	s_or_b32 exec_lo, exec_lo, s38
	s_and_saveexec_b32 vcc_lo, s39
	s_delay_alu instid0(SALU_CYCLE_1)
	s_xor_b32 vcc_lo, exec_lo, vcc_lo
	s_cbranch_execz .LBB6_444
; %bb.443:                              ;   in Loop: Header=BB6_314 Depth=3
	ds_store_b32 v0, v9
	s_cbranch_execnz .LBB6_1954
.LBB6_444:                              ;   in Loop: Header=BB6_314 Depth=3
	s_or_b32 exec_lo, exec_lo, s14
	;;#ASMSTART
	s_wakeup
	;;#ASMEND
.LBB6_445:                              ;   in Loop: Header=BB6_314 Depth=3
	s_or_b32 exec_lo, exec_lo, s13
.LBB6_446:                              ;   in Loop: Header=BB6_314 Depth=3
	s_and_not1_saveexec_b32 s4, s4
	s_cbranch_execz .LBB6_448
; %bb.447:                              ;   in Loop: Header=BB6_314 Depth=3
	s_waitcnt lgkmcnt(0)
	s_waitcnt_vscnt null, 0x0
	buffer_gl1_inv
	buffer_gl0_inv
	s_barrier
.LBB6_448:                              ;   in Loop: Header=BB6_314 Depth=3
	s_or_b32 exec_lo, exec_lo, s4
.LBB6_449:                              ;   in Loop: Header=BB6_314 Depth=3
	s_delay_alu instid0(SALU_CYCLE_1) | instskip(SKIP_1) | instid1(SALU_CYCLE_1)
	s_or_b32 exec_lo, exec_lo, s2
                                        ; implicit-def: $vgpr2
	s_and_saveexec_b32 s2, s7
	s_xor_b32 s2, exec_lo, s2
	s_cbranch_execz .LBB6_453
; %bb.450:                              ;   in Loop: Header=BB6_314 Depth=3
	v_and_b32_e32 v2, 16, v30
	v_cmp_lt_i32_e32 vcc_lo, 0, v11
	s_delay_alu instid0(VALU_DEP_2) | instskip(SKIP_1) | instid1(VALU_DEP_2)
	v_cmp_ne_u32_e64 s13, 0, v2
	v_and_b32_e32 v2, 16, v30
	s_and_b32 s13, s13, vcc_lo
	s_delay_alu instid0(SALU_CYCLE_1)
	s_and_saveexec_b32 s4, s13
	s_cbranch_execz .LBB6_452
; %bb.451:                              ;   in Loop: Header=BB6_314 Depth=3
	v_mov_b32_e32 v2, 1
	s_waitcnt lgkmcnt(0)
	s_waitcnt_vscnt null, 0x0
	buffer_gl1_inv
	buffer_gl0_inv
.LBB6_452:                              ;   in Loop: Header=BB6_314 Depth=3
	s_or_b32 exec_lo, exec_lo, s4
.LBB6_453:                              ;   in Loop: Header=BB6_314 Depth=3
	s_and_not1_saveexec_b32 s2, s2
	s_cbranch_execz .LBB6_475
; %bb.454:                              ;   in Loop: Header=BB6_314 Depth=3
	s_and_saveexec_b32 s4, s41
	s_delay_alu instid0(SALU_CYCLE_1)
	s_xor_b32 s4, exec_lo, s4
	s_cbranch_execz .LBB6_472
; %bb.455:                              ;   in Loop: Header=BB6_314 Depth=3
	s_and_saveexec_b32 s13, s1
	s_cbranch_execz .LBB6_471
; %bb.456:                              ;   in Loop: Header=BB6_314 Depth=3
	s_mov_b32 s38, exec_lo
	s_mov_b32 s14, exec_lo
	v_mbcnt_lo_u32_b32 v2, s38, 0
	;;#ASMSTART
	s_waitcnt lgkmcnt(0) vmcnt(0)
	;;#ASMEND
	s_delay_alu instid0(VALU_DEP_1)
	v_cmpx_eq_u32_e32 0, v2
	s_cbranch_execz .LBB6_458
; %bb.457:                              ;   in Loop: Header=BB6_314 Depth=3
	s_bcnt1_i32_b32 vcc_lo, s38
	s_delay_alu instid0(SALU_CYCLE_1)
	v_mov_b32_e32 v2, vcc_lo
	ds_add_u64 v0, v[2:3]
	s_cbranch_execnz .LBB6_1758
.LBB6_458:                              ;   in Loop: Header=BB6_314 Depth=3
	s_or_b32 exec_lo, exec_lo, s14
	s_cbranch_execnz .LBB6_1736
; %bb.459:                              ;   in Loop: Header=BB6_314 Depth=3
	ds_load_b64 v[14:15], v0
	v_add_co_u32 v80, vcc_lo, v80, v147
	v_add_co_ci_u32_e32 v81, vcc_lo, 0, v81, vcc_lo
	s_mov_b32 s14, exec_lo
	s_waitcnt lgkmcnt(0)
	s_delay_alu instid0(VALU_DEP_1)
	v_cmpx_lt_u64_e64 v[14:15], v[80:81]
	s_cbranch_execz .LBB6_470
; %bb.460:                              ;   in Loop: Header=BB6_314 Depth=3
	s_mov_b32 s38, 0
	s_mov_b32 s42, 0
                                        ; implicit-def: $sgpr39
                                        ; implicit-def: $sgpr40
	s_branch .LBB6_462
.LBB6_461:                              ;   in Loop: Header=BB6_462 Depth=4
	s_or_b32 exec_lo, exec_lo, s44
	s_delay_alu instid0(SALU_CYCLE_1) | instskip(NEXT) | instid1(SALU_CYCLE_1)
	s_and_b32 vcc_lo, exec_lo, vcc_lo
	s_or_b32 s38, vcc_lo, s38
	s_and_not1_b32 vcc_lo, s39, exec_lo
	s_and_b32 s39, s40, exec_lo
	s_delay_alu instid0(SALU_CYCLE_1)
	s_or_b32 s39, vcc_lo, s39
	s_and_not1_b32 exec_lo, exec_lo, s38
	s_cbranch_execz .LBB6_468
.LBB6_462:                              ;   Parent Loop BB6_55 Depth=1
                                        ;     Parent Loop BB6_312 Depth=2
                                        ;       Parent Loop BB6_314 Depth=3
                                        ; =>      This Inner Loop Header: Depth=4
	s_add_i32 s42, s42, 1
                                        ; implicit-def: $sgpr44
	s_delay_alu instid0(SALU_CYCLE_1) | instskip(SKIP_1) | instid1(SALU_CYCLE_1)
	s_cmpk_lg_i32 s42, 0x2710
	s_cselect_b32 s43, -1, 0
	s_and_b32 vcc_lo, exec_lo, s43
	s_cbranch_vccz .LBB6_466
.LBB6_463:                              ;   in Loop: Header=BB6_462 Depth=4
	s_and_not1_b32 s40, s40, exec_lo
	s_and_b32 s44, s44, exec_lo
	s_mov_b32 vcc_lo, -1
	s_or_b32 s40, s40, s44
	s_and_saveexec_b32 s44, s43
	s_cbranch_execz .LBB6_461
; %bb.464:                              ;   in Loop: Header=BB6_462 Depth=4
	s_sleep 1
	s_cbranch_execnz .LBB6_1812
; %bb.465:                              ;   in Loop: Header=BB6_462 Depth=4
	ds_load_b64 v[14:15], v0
	s_and_not1_b32 s40, s40, exec_lo
	s_waitcnt lgkmcnt(0)
	v_cmp_ge_u64_e32 vcc_lo, v[14:15], v[80:81]
	s_or_not1_b32 vcc_lo, vcc_lo, exec_lo
	s_branch .LBB6_461
.LBB6_466:                              ;   in Loop: Header=BB6_462 Depth=4
	s_cbranch_execnz .LBB6_1832
; %bb.467:                              ;   in Loop: Header=BB6_462 Depth=4
	ds_load_b64 v[14:15], v0
	s_and_not1_b32 s43, s43, exec_lo
	s_mov_b32 s42, 0
	s_mov_b32 s44, -1
	s_waitcnt lgkmcnt(0)
	s_waitcnt_vscnt null, 0x0
	flat_load_b32 v2, v[14:15] glc
	s_waitcnt vmcnt(0) lgkmcnt(0)
	buffer_gl1_inv
	buffer_gl0_inv
	v_cmp_eq_u32_e32 vcc_lo, 0, v2
	s_and_b32 vcc_lo, vcc_lo, exec_lo
	s_delay_alu instid0(SALU_CYCLE_1)
	s_or_b32 s43, s43, vcc_lo
	s_branch .LBB6_463
.LBB6_468:                              ;   in Loop: Header=BB6_314 Depth=3
	s_or_b32 exec_lo, exec_lo, s38
	s_and_saveexec_b32 vcc_lo, s39
	s_delay_alu instid0(SALU_CYCLE_1)
	s_xor_b32 vcc_lo, exec_lo, vcc_lo
	s_cbranch_execz .LBB6_470
; %bb.469:                              ;   in Loop: Header=BB6_314 Depth=3
	ds_store_b32 v0, v9
	s_cbranch_execnz .LBB6_1956
.LBB6_470:                              ;   in Loop: Header=BB6_314 Depth=3
	s_or_b32 exec_lo, exec_lo, s14
	;;#ASMSTART
	s_wakeup
	;;#ASMEND
.LBB6_471:                              ;   in Loop: Header=BB6_314 Depth=3
	s_or_b32 exec_lo, exec_lo, s13
.LBB6_472:                              ;   in Loop: Header=BB6_314 Depth=3
	s_and_not1_saveexec_b32 s4, s4
	s_cbranch_execz .LBB6_474
; %bb.473:                              ;   in Loop: Header=BB6_314 Depth=3
	;;#ASMSTART
	s_waitcnt lgkmcnt(0) vmcnt(0)
	;;#ASMEND
	s_waitcnt lgkmcnt(0)
	s_waitcnt_vscnt null, 0x0
	s_barrier
.LBB6_474:                              ;   in Loop: Header=BB6_314 Depth=3
	s_or_b32 exec_lo, exec_lo, s4
	v_and_b32_e32 v2, 16, v30
.LBB6_475:                              ;   in Loop: Header=BB6_314 Depth=3
	s_or_b32 exec_lo, exec_lo, s2
	s_delay_alu instid0(VALU_DEP_1) | instskip(SKIP_1) | instid1(SALU_CYCLE_1)
	v_cmp_ne_u32_e32 vcc_lo, 0, v2
	s_xor_b32 s2, s6, -1
	s_and_b32 s4, vcc_lo, s2
	s_delay_alu instid0(SALU_CYCLE_1)
	s_and_saveexec_b32 s2, s4
	s_cbranch_execz .LBB6_477
; %bb.476:                              ;   in Loop: Header=BB6_314 Depth=3
	s_waitcnt lgkmcnt(0)
	s_waitcnt_vscnt null, 0x0
	flat_store_b32 v[70:71], v9
.LBB6_477:                              ;   in Loop: Header=BB6_314 Depth=3
	s_or_b32 exec_lo, exec_lo, s2
	v_and_b32_e32 v2, 48, v30
	s_mov_b32 s2, exec_lo
	s_delay_alu instid0(VALU_DEP_1)
	v_cmpx_ne_u32_e32 0, v2
	s_cbranch_execz .LBB6_479
; %bb.478:                              ;   in Loop: Header=BB6_314 Depth=3
	v_add_co_u32 v66, vcc_lo, v66, 2
	v_add_co_ci_u32_e32 v67, vcc_lo, 0, v67, vcc_lo
	s_waitcnt lgkmcnt(0)
	s_waitcnt_vscnt null, 0x0
	flat_store_b64 v[64:65], v[66:67]
.LBB6_479:                              ;   in Loop: Header=BB6_314 Depth=3
	s_or_b32 exec_lo, exec_lo, s2
	v_add_nc_u32_e32 v10, v8, v10
	v_readlane_b32 s2, v74, 20
	s_mov_b32 s13, 2
	s_mov_b32 s14, s37
	;; [unrolled: 1-line block ×3, first 2 shown]
	v_cmp_ge_i32_e32 vcc_lo, v10, v20
	s_xor_b32 s2, s2, -1
	s_delay_alu instid0(SALU_CYCLE_1) | instskip(NEXT) | instid1(SALU_CYCLE_1)
	s_or_b32 s2, s2, vcc_lo
	s_and_b32 s4, exec_lo, s2
	v_readlane_b32 s2, v74, 21
	s_or_b32 s17, s4, s17
	s_mov_b32 s4, 0
	s_delay_alu instid0(VALU_DEP_1)
	v_mov_b32_e32 v2, s2
	s_and_not1_b32 exec_lo, exec_lo, s17
	s_cbranch_execnz .LBB6_314
; %bb.480:                              ;   in Loop: Header=BB6_312 Depth=2
	s_or_b32 exec_lo, exec_lo, s17
.LBB6_481:                              ;   in Loop: Header=BB6_312 Depth=2
	s_delay_alu instid0(SALU_CYCLE_1) | instskip(NEXT) | instid1(SALU_CYCLE_1)
	s_or_b32 exec_lo, exec_lo, s16
	s_mov_b32 s16, exec_lo
	v_cmpx_gt_i32_e32 2, v2
	s_cbranch_execz .LBB6_565
; %bb.482:                              ;   in Loop: Header=BB6_312 Depth=2
	v_cmp_eq_u32_e64 s13, 0, v2
	s_mov_b32 s17, 0
.LBB6_483:                              ;   Parent Loop BB6_55 Depth=1
                                        ;     Parent Loop BB6_312 Depth=2
                                        ; =>    This Loop Header: Depth=3
                                        ;         Child Loop BB6_489 Depth 4
                                        ;         Child Loop BB6_519 Depth 4
	;; [unrolled: 1-line block ×3, first 2 shown]
	v_and_b32_e32 v2, 12, v30
	s_mov_b32 s25, -1
	s_mov_b32 s2, exec_lo
	s_delay_alu instid0(VALU_DEP_1)
	v_cmpx_ne_u32_e32 0, v2
	s_cbranch_execz .LBB6_497
; %bb.484:                              ;   in Loop: Header=BB6_483 Depth=3
	v_dual_mov_b32 v9, 1 :: v_dual_and_b32 v2, 8, v30
	s_mov_b32 s4, s37
	s_mov_b32 s25, exec_lo
	s_delay_alu instid0(VALU_DEP_1) | instskip(SKIP_3) | instid1(VALU_DEP_1)
	v_add_co_u32 v13, vcc_lo, v82, v2
	v_add_co_ci_u32_e32 v14, vcc_lo, 0, v83, vcc_lo
	v_add_co_u32 v11, vcc_lo, v66, 2
	v_add_co_ci_u32_e32 v12, vcc_lo, 0, v67, vcc_lo
	v_cmpx_lt_u64_e64 v[13:14], v[11:12]
	s_cbranch_execz .LBB6_496
; %bb.485:                              ;   in Loop: Header=BB6_483 Depth=3
	v_mov_b32_e32 v9, 0
	s_mov_b32 s37, 0
                                        ; implicit-def: $sgpr38
	s_branch .LBB6_489
.LBB6_486:                              ;   in Loop: Header=BB6_489 Depth=4
	s_or_b32 exec_lo, exec_lo, s43
	v_mov_b32_e32 v13, 0
	s_or_not1_b32 s42, s42, exec_lo
.LBB6_487:                              ;   in Loop: Header=BB6_489 Depth=4
	s_or_b32 exec_lo, exec_lo, s40
	s_delay_alu instid0(VALU_DEP_1) | instskip(SKIP_2) | instid1(SALU_CYCLE_1)
	v_mov_b32_e32 v9, v13
	s_and_not1_b32 vcc_lo, s38, exec_lo
	s_and_b32 s38, s42, exec_lo
	s_or_b32 s38, vcc_lo, s38
.LBB6_488:                              ;   in Loop: Header=BB6_489 Depth=4
	s_or_b32 exec_lo, exec_lo, s39
	s_waitcnt vmcnt(0) lgkmcnt(0)
	v_add_co_u32 v13, vcc_lo, v82, v2
	v_add_co_ci_u32_e32 v14, vcc_lo, 0, v83, vcc_lo
	s_xor_b32 s39, s38, -1
	s_delay_alu instid0(VALU_DEP_1) | instskip(SKIP_1) | instid1(SALU_CYCLE_1)
	v_cmp_ge_u64_e32 vcc_lo, v[13:14], v[11:12]
	s_or_b32 vcc_lo, s39, vcc_lo
	s_and_b32 vcc_lo, exec_lo, vcc_lo
	s_delay_alu instid0(SALU_CYCLE_1) | instskip(NEXT) | instid1(SALU_CYCLE_1)
	s_or_b32 s37, vcc_lo, s37
	s_and_not1_b32 exec_lo, exec_lo, s37
	s_cbranch_execz .LBB6_495
.LBB6_489:                              ;   Parent Loop BB6_55 Depth=1
                                        ;     Parent Loop BB6_312 Depth=2
                                        ;       Parent Loop BB6_483 Depth=3
                                        ; =>      This Inner Loop Header: Depth=4
	s_sleep 1
	flat_load_b64 v[82:83], v[64:65] glc
	v_and_b32_e32 v13, 64, v30
	s_and_not1_b32 s38, s38, exec_lo
	s_mov_b32 s39, exec_lo
	s_delay_alu instid0(VALU_DEP_1)
	v_cmpx_eq_u32_e32 0, v13
	s_cbranch_execz .LBB6_488
; %bb.490:                              ;   in Loop: Header=BB6_489 Depth=4
	v_add_nc_u32_e32 v13, 1, v9
	s_mov_b32 s42, -1
	s_mov_b32 s40, exec_lo
	v_cmpx_lt_i32_e32 0x270e, v9
	s_cbranch_execz .LBB6_487
; %bb.491:                              ;   in Loop: Header=BB6_489 Depth=4
	s_cbranch_execnz .LBB6_1556
; %bb.492:                              ;   in Loop: Header=BB6_489 Depth=4
	ds_load_b64 v[13:14], v0
	s_mov_b32 s43, exec_lo
	s_waitcnt vmcnt(0) lgkmcnt(0)
	s_waitcnt_vscnt null, 0x0
	flat_load_b32 v9, v[13:14] glc
	s_waitcnt vmcnt(0) lgkmcnt(0)
	buffer_gl1_inv
	buffer_gl0_inv
	v_cmpx_ne_u32_e32 0, v9
	s_cbranch_execz .LBB6_486
; %bb.493:                              ;   in Loop: Header=BB6_489 Depth=4
	ds_store_b32 v0, v9
	s_cbranch_execnz .LBB6_1604
; %bb.494:                              ;   in Loop: Header=BB6_489 Depth=4
	v_or_b32_e32 v30, 64, v30
	s_xor_b32 s42, exec_lo, -1
	s_branch .LBB6_486
.LBB6_495:                              ;   in Loop: Header=BB6_483 Depth=3
	s_or_b32 exec_lo, exec_lo, s37
	v_and_b32_e32 v9, 12, v30
.LBB6_496:                              ;   in Loop: Header=BB6_483 Depth=3
	s_or_b32 exec_lo, exec_lo, s25
	s_delay_alu instid0(VALU_DEP_1)
	v_cmp_eq_u32_e32 vcc_lo, 0, v9
	s_mov_b32 s37, s4
	;;#ASMSTART
	s_wakeup
	;;#ASMEND
	s_or_not1_b32 s25, vcc_lo, exec_lo
.LBB6_497:                              ;   in Loop: Header=BB6_483 Depth=3
	s_or_b32 exec_lo, exec_lo, s2
	v_sub_nc_u32_e32 v2, v20, v10
	s_xor_b32 s2, s13, -1
	s_delay_alu instid0(SALU_CYCLE_1) | instskip(NEXT) | instid1(SALU_CYCLE_1)
	s_and_b32 s2, exec_lo, s2
	s_or_b32 s17, s2, s17
	s_delay_alu instid0(VALU_DEP_1) | instskip(SKIP_1) | instid1(SALU_CYCLE_1)
	v_min_i32_e32 v8, v8, v2
	s_xor_b32 s4, s25, -1
	s_and_saveexec_b32 s2, s4
	s_cbranch_execz .LBB6_510
; %bb.498:                              ;   in Loop: Header=BB6_483 Depth=3
	v_and_b32_e32 v2, 0x108, v30
	s_mov_b32 s4, s37
	s_delay_alu instid0(VALU_DEP_1) | instskip(SKIP_2) | instid1(SALU_CYCLE_1)
	v_cmp_ne_u32_e32 vcc_lo, 0x108, v2
	v_and_b32_e32 v2, 7, v66
	s_and_saveexec_b32 s13, vcc_lo
	s_xor_b32 s13, exec_lo, s13
	s_delay_alu instid0(SALU_CYCLE_1)
	s_and_not1_saveexec_b32 s13, s13
	s_cbranch_execz .LBB6_500
; %bb.499:                              ;   in Loop: Header=BB6_483 Depth=3
	v_ashrrev_i32_e32 v9, 31, v8
	v_mad_u64_u32 v[11:12], null, v2, 24, v[6:7]
	s_delay_alu instid0(VALU_DEP_2)
	v_lshlrev_b64 v[13:14], 3, v[8:9]
	flat_store_b64 v[11:12], v[13:14] offset:8
.LBB6_500:                              ;   in Loop: Header=BB6_483 Depth=3
	s_or_b32 exec_lo, exec_lo, s13
	v_and_b32_e32 v9, 0x100, v30
	s_mov_b32 s13, -1
	s_mov_b32 s25, exec_lo
                                        ; implicit-def: $vgpr11_vgpr12
	s_delay_alu instid0(VALU_DEP_1)
	v_cmpx_ne_u32_e32 0, v9
	s_cbranch_execz .LBB6_505
; %bb.501:                              ;   in Loop: Header=BB6_483 Depth=3
	v_mad_u64_u32 v[13:14], null, v2, 24, v[6:7]
	s_mov_b32 s37, exec_lo
	s_delay_alu instid0(VALU_DEP_1) | instskip(NEXT) | instid1(VALU_DEP_1)
	v_mov_b32_e32 v9, v14
	v_mad_u64_u32 v[11:12], null, v3, 24, v[9:10]
	s_delay_alu instid0(VALU_DEP_1)
	v_mov_b32_e32 v14, v11
                                        ; implicit-def: $vgpr11_vgpr12
	flat_load_b32 v9, v[13:14]
	s_waitcnt vmcnt(0) lgkmcnt(0)
	v_cmp_ne_u32_e32 vcc_lo, 1, v9
	v_cmpx_eq_u32_e32 1, v9
	s_cbranch_execz .LBB6_503
; %bb.502:                              ;   in Loop: Header=BB6_483 Depth=3
	flat_load_b32 v11, v[13:14] offset:4 glc
	s_waitcnt vmcnt(0) lgkmcnt(0)
	v_ashrrev_i32_e32 v12, 31, v11
	s_delay_alu instid0(VALU_DEP_1)
	v_lshrrev_b64 v[11:12], 3, v[11:12]
.LBB6_503:                              ;   in Loop: Header=BB6_483 Depth=3
	s_or_b32 exec_lo, exec_lo, s37
	s_delay_alu instid0(SALU_CYCLE_1)
	s_or_not1_b32 s13, vcc_lo, exec_lo
	s_or_b32 exec_lo, exec_lo, s25
	s_and_saveexec_b32 s25, s13
	s_cbranch_execnz .LBB6_506
.LBB6_504:                              ;   in Loop: Header=BB6_483 Depth=3
	s_or_b32 exec_lo, exec_lo, s25
	s_cbranch_execz .LBB6_507
	s_branch .LBB6_1548
.LBB6_505:                              ;   in Loop: Header=BB6_483 Depth=3
	s_or_b32 exec_lo, exec_lo, s25
	s_and_saveexec_b32 s25, s13
	s_cbranch_execz .LBB6_504
.LBB6_506:                              ;   in Loop: Header=BB6_483 Depth=3
	v_mul_lo_u32 v9, v3, v145
	v_mul_lo_u32 v13, v2, v146
	v_mad_u64_u32 v[11:12], null, v2, v145, 0
	s_delay_alu instid0(VALU_DEP_1)
	v_add3_u32 v12, v12, v13, v9
	s_or_b32 exec_lo, exec_lo, s25
	s_cbranch_execnz .LBB6_1548
.LBB6_507:                              ;   in Loop: Header=BB6_483 Depth=3
	s_delay_alu instid0(VALU_DEP_1) | instskip(SKIP_2) | instid1(VALU_DEP_2)
	v_lshlrev_b64 v[11:12], 3, v[11:12]
	v_and_b32_e32 v2, 0x2000, v30
	s_mov_b32 s13, exec_lo
	v_add_co_u32 v11, vcc_lo, v68, v11
	s_delay_alu instid0(VALU_DEP_3)
	v_add_co_ci_u32_e32 v12, vcc_lo, v69, v12, vcc_lo
	ds_store_b64 v0, v[11:12]
	v_cmpx_ne_u32_e32 0, v2
	s_cbranch_execz .LBB6_509
; %bb.508:                              ;   in Loop: Header=BB6_483 Depth=3
	ds_load_b64 v[11:12], v0 offset:584
	s_waitcnt lgkmcnt(0)
	v_add_co_u32 v11, vcc_lo, v11, 1
	v_add_co_ci_u32_e32 v12, vcc_lo, 0, v12, vcc_lo
	ds_store_b64 v0, v[11:12] offset:584
.LBB6_509:                              ;   in Loop: Header=BB6_483 Depth=3
	s_or_b32 exec_lo, exec_lo, s13
	v_add_co_u32 v66, vcc_lo, v66, 2
	v_add_co_ci_u32_e32 v67, vcc_lo, 0, v67, vcc_lo
	s_mov_b32 s37, s4
.LBB6_510:                              ;   in Loop: Header=BB6_483 Depth=3
	s_or_b32 exec_lo, exec_lo, s2
	s_and_saveexec_b32 s13, s3
	s_cbranch_execz .LBB6_532
; %bb.511:                              ;   in Loop: Header=BB6_483 Depth=3
	v_mov_b32_e32 v9, 1
	s_mov_b32 s4, s37
	s_mov_b32 s2, s14
	s_and_saveexec_b32 s14, s41
	s_delay_alu instid0(SALU_CYCLE_1)
	s_xor_b32 s14, exec_lo, s14
	s_cbranch_execz .LBB6_529
; %bb.512:                              ;   in Loop: Header=BB6_483 Depth=3
	s_and_saveexec_b32 s25, s1
	s_cbranch_execz .LBB6_528
; %bb.513:                              ;   in Loop: Header=BB6_483 Depth=3
	s_mov_b32 s38, exec_lo
	s_mov_b32 s37, exec_lo
	v_mbcnt_lo_u32_b32 v2, s38, 0
	s_waitcnt lgkmcnt(0)
	s_waitcnt_vscnt null, 0x0
	buffer_gl1_inv
	buffer_gl0_inv
	v_cmpx_eq_u32_e32 0, v2
	s_cbranch_execz .LBB6_515
; %bb.514:                              ;   in Loop: Header=BB6_483 Depth=3
	s_bcnt1_i32_b32 vcc_lo, s38
	s_delay_alu instid0(SALU_CYCLE_1)
	v_mov_b32_e32 v2, vcc_lo
	ds_add_u64 v0, v[2:3]
	s_cbranch_execnz .LBB6_1658
.LBB6_515:                              ;   in Loop: Header=BB6_483 Depth=3
	s_or_b32 exec_lo, exec_lo, s37
	s_cbranch_execnz .LBB6_1624
; %bb.516:                              ;   in Loop: Header=BB6_483 Depth=3
	ds_load_b64 v[11:12], v0
	v_add_co_u32 v80, vcc_lo, v80, v147
	v_add_co_ci_u32_e32 v81, vcc_lo, 0, v81, vcc_lo
	s_mov_b32 s37, exec_lo
	s_waitcnt lgkmcnt(0)
	s_delay_alu instid0(VALU_DEP_1)
	v_cmpx_lt_u64_e64 v[11:12], v[80:81]
	s_cbranch_execz .LBB6_527
; %bb.517:                              ;   in Loop: Header=BB6_483 Depth=3
	s_mov_b32 s38, 0
	s_mov_b32 s42, 0
                                        ; implicit-def: $sgpr39
                                        ; implicit-def: $sgpr40
	s_branch .LBB6_519
.LBB6_518:                              ;   in Loop: Header=BB6_519 Depth=4
	s_or_b32 exec_lo, exec_lo, s44
	s_delay_alu instid0(SALU_CYCLE_1) | instskip(NEXT) | instid1(SALU_CYCLE_1)
	s_and_b32 vcc_lo, exec_lo, vcc_lo
	s_or_b32 s38, vcc_lo, s38
	s_and_not1_b32 vcc_lo, s39, exec_lo
	s_and_b32 s39, s40, exec_lo
	s_delay_alu instid0(SALU_CYCLE_1)
	s_or_b32 s39, vcc_lo, s39
	s_and_not1_b32 exec_lo, exec_lo, s38
	s_cbranch_execz .LBB6_525
.LBB6_519:                              ;   Parent Loop BB6_55 Depth=1
                                        ;     Parent Loop BB6_312 Depth=2
                                        ;       Parent Loop BB6_483 Depth=3
                                        ; =>      This Inner Loop Header: Depth=4
	s_add_i32 s42, s42, 1
                                        ; implicit-def: $sgpr44
	s_delay_alu instid0(SALU_CYCLE_1) | instskip(SKIP_1) | instid1(SALU_CYCLE_1)
	s_cmpk_lg_i32 s42, 0x2710
	s_cselect_b32 s43, -1, 0
	s_and_b32 vcc_lo, exec_lo, s43
	s_cbranch_vccz .LBB6_523
.LBB6_520:                              ;   in Loop: Header=BB6_519 Depth=4
	s_and_not1_b32 s40, s40, exec_lo
	s_and_b32 s44, s44, exec_lo
	s_mov_b32 vcc_lo, -1
	s_or_b32 s40, s40, s44
	s_and_saveexec_b32 s44, s43
	s_cbranch_execz .LBB6_518
; %bb.521:                              ;   in Loop: Header=BB6_519 Depth=4
	s_sleep 1
	s_cbranch_execnz .LBB6_1706
; %bb.522:                              ;   in Loop: Header=BB6_519 Depth=4
	ds_load_b64 v[11:12], v0
	s_and_not1_b32 s40, s40, exec_lo
	s_waitcnt lgkmcnt(0)
	v_cmp_ge_u64_e32 vcc_lo, v[11:12], v[80:81]
	s_or_not1_b32 vcc_lo, vcc_lo, exec_lo
	s_branch .LBB6_518
.LBB6_523:                              ;   in Loop: Header=BB6_519 Depth=4
	s_cbranch_execnz .LBB6_1716
; %bb.524:                              ;   in Loop: Header=BB6_519 Depth=4
	ds_load_b64 v[11:12], v0
	s_and_not1_b32 s43, s43, exec_lo
	s_mov_b32 s42, 0
	s_mov_b32 s44, -1
	s_waitcnt lgkmcnt(0)
	flat_load_b32 v2, v[11:12] glc
	s_waitcnt vmcnt(0) lgkmcnt(0)
	buffer_gl1_inv
	buffer_gl0_inv
	v_cmp_eq_u32_e32 vcc_lo, 0, v2
	s_and_b32 vcc_lo, vcc_lo, exec_lo
	s_delay_alu instid0(SALU_CYCLE_1)
	s_or_b32 s43, s43, vcc_lo
	s_branch .LBB6_520
.LBB6_525:                              ;   in Loop: Header=BB6_483 Depth=3
	s_or_b32 exec_lo, exec_lo, s38
	s_and_saveexec_b32 vcc_lo, s39
	s_delay_alu instid0(SALU_CYCLE_1)
	s_xor_b32 vcc_lo, exec_lo, vcc_lo
	s_cbranch_execz .LBB6_527
; %bb.526:                              ;   in Loop: Header=BB6_483 Depth=3
	ds_store_b32 v0, v9
	s_cbranch_execnz .LBB6_1916
.LBB6_527:                              ;   in Loop: Header=BB6_483 Depth=3
	s_or_b32 exec_lo, exec_lo, s37
	;;#ASMSTART
	s_wakeup
	;;#ASMEND
.LBB6_528:                              ;   in Loop: Header=BB6_483 Depth=3
	s_or_b32 exec_lo, exec_lo, s25
.LBB6_529:                              ;   in Loop: Header=BB6_483 Depth=3
	s_and_not1_saveexec_b32 s14, s14
	s_cbranch_execz .LBB6_531
; %bb.530:                              ;   in Loop: Header=BB6_483 Depth=3
	s_waitcnt lgkmcnt(0)
	s_waitcnt_vscnt null, 0x0
	buffer_gl1_inv
	buffer_gl0_inv
	s_barrier
.LBB6_531:                              ;   in Loop: Header=BB6_483 Depth=3
	s_or_b32 exec_lo, exec_lo, s14
	s_mov_b32 s14, s2
	s_mov_b32 s37, s4
.LBB6_532:                              ;   in Loop: Header=BB6_483 Depth=3
	v_mov_b32_e32 v9, 1
	s_mov_b32 s4, s37
	s_mov_b32 s2, s14
	s_or_b32 exec_lo, exec_lo, s13
	s_mov_b32 s14, s21
                                        ; implicit-def: $vgpr2
	s_and_saveexec_b32 s13, s21
	s_delay_alu instid0(SALU_CYCLE_1)
	s_xor_b32 s13, exec_lo, s13
	s_cbranch_execz .LBB6_554
; %bb.533:                              ;   in Loop: Header=BB6_483 Depth=3
	s_and_saveexec_b32 s21, s41
	s_delay_alu instid0(SALU_CYCLE_1)
	s_xor_b32 s21, exec_lo, s21
	s_cbranch_execz .LBB6_551
; %bb.534:                              ;   in Loop: Header=BB6_483 Depth=3
	s_and_saveexec_b32 s25, s1
	s_cbranch_execz .LBB6_550
; %bb.535:                              ;   in Loop: Header=BB6_483 Depth=3
	s_mov_b32 s38, exec_lo
	s_mov_b32 s37, exec_lo
	v_mbcnt_lo_u32_b32 v2, s38, 0
	;;#ASMSTART
	s_waitcnt lgkmcnt(0) vmcnt(0)
	;;#ASMEND
	s_delay_alu instid0(VALU_DEP_1)
	v_cmpx_eq_u32_e32 0, v2
	s_cbranch_execz .LBB6_537
; %bb.536:                              ;   in Loop: Header=BB6_483 Depth=3
	s_bcnt1_i32_b32 vcc_lo, s38
	s_delay_alu instid0(SALU_CYCLE_1)
	v_mov_b32_e32 v2, vcc_lo
	ds_add_u64 v0, v[2:3]
	s_cbranch_execnz .LBB6_1666
.LBB6_537:                              ;   in Loop: Header=BB6_483 Depth=3
	s_or_b32 exec_lo, exec_lo, s37
	s_cbranch_execnz .LBB6_1634
; %bb.538:                              ;   in Loop: Header=BB6_483 Depth=3
	ds_load_b64 v[11:12], v0
	v_add_co_u32 v80, vcc_lo, v80, v147
	v_add_co_ci_u32_e32 v81, vcc_lo, 0, v81, vcc_lo
	s_mov_b32 s37, exec_lo
	s_waitcnt lgkmcnt(0)
	s_delay_alu instid0(VALU_DEP_1)
	v_cmpx_lt_u64_e64 v[11:12], v[80:81]
	s_cbranch_execz .LBB6_549
; %bb.539:                              ;   in Loop: Header=BB6_483 Depth=3
	s_mov_b32 s38, 0
	s_mov_b32 s42, 0
                                        ; implicit-def: $sgpr39
                                        ; implicit-def: $sgpr40
	s_branch .LBB6_541
.LBB6_540:                              ;   in Loop: Header=BB6_541 Depth=4
	s_or_b32 exec_lo, exec_lo, s44
	s_delay_alu instid0(SALU_CYCLE_1) | instskip(NEXT) | instid1(SALU_CYCLE_1)
	s_and_b32 vcc_lo, exec_lo, vcc_lo
	s_or_b32 s38, vcc_lo, s38
	s_and_not1_b32 vcc_lo, s39, exec_lo
	s_and_b32 s39, s40, exec_lo
	s_delay_alu instid0(SALU_CYCLE_1)
	s_or_b32 s39, vcc_lo, s39
	s_and_not1_b32 exec_lo, exec_lo, s38
	s_cbranch_execz .LBB6_547
.LBB6_541:                              ;   Parent Loop BB6_55 Depth=1
                                        ;     Parent Loop BB6_312 Depth=2
                                        ;       Parent Loop BB6_483 Depth=3
                                        ; =>      This Inner Loop Header: Depth=4
	s_add_i32 s42, s42, 1
                                        ; implicit-def: $sgpr44
	s_delay_alu instid0(SALU_CYCLE_1) | instskip(SKIP_1) | instid1(SALU_CYCLE_1)
	s_cmpk_lg_i32 s42, 0x2710
	s_cselect_b32 s43, -1, 0
	s_and_b32 vcc_lo, exec_lo, s43
	s_cbranch_vccz .LBB6_545
.LBB6_542:                              ;   in Loop: Header=BB6_541 Depth=4
	s_and_not1_b32 s40, s40, exec_lo
	s_and_b32 s44, s44, exec_lo
	s_mov_b32 vcc_lo, -1
	s_or_b32 s40, s40, s44
	s_and_saveexec_b32 s44, s43
	s_cbranch_execz .LBB6_540
; %bb.543:                              ;   in Loop: Header=BB6_541 Depth=4
	s_sleep 1
	s_cbranch_execnz .LBB6_1710
; %bb.544:                              ;   in Loop: Header=BB6_541 Depth=4
	ds_load_b64 v[11:12], v0
	s_and_not1_b32 s40, s40, exec_lo
	s_waitcnt lgkmcnt(0)
	v_cmp_ge_u64_e32 vcc_lo, v[11:12], v[80:81]
	s_or_not1_b32 vcc_lo, vcc_lo, exec_lo
	s_branch .LBB6_540
.LBB6_545:                              ;   in Loop: Header=BB6_541 Depth=4
	s_cbranch_execnz .LBB6_1728
; %bb.546:                              ;   in Loop: Header=BB6_541 Depth=4
	ds_load_b64 v[11:12], v0
	s_and_not1_b32 s43, s43, exec_lo
	s_mov_b32 s42, 0
	s_mov_b32 s44, -1
	s_waitcnt lgkmcnt(0)
	s_waitcnt_vscnt null, 0x0
	flat_load_b32 v2, v[11:12] glc
	s_waitcnt vmcnt(0) lgkmcnt(0)
	buffer_gl1_inv
	buffer_gl0_inv
	v_cmp_eq_u32_e32 vcc_lo, 0, v2
	s_and_b32 vcc_lo, vcc_lo, exec_lo
	s_delay_alu instid0(SALU_CYCLE_1)
	s_or_b32 s43, s43, vcc_lo
	s_branch .LBB6_542
.LBB6_547:                              ;   in Loop: Header=BB6_483 Depth=3
	s_or_b32 exec_lo, exec_lo, s38
	s_and_saveexec_b32 vcc_lo, s39
	s_delay_alu instid0(SALU_CYCLE_1)
	s_xor_b32 vcc_lo, exec_lo, vcc_lo
	s_cbranch_execz .LBB6_549
; %bb.548:                              ;   in Loop: Header=BB6_483 Depth=3
	ds_store_b32 v0, v9
	s_cbranch_execnz .LBB6_1920
.LBB6_549:                              ;   in Loop: Header=BB6_483 Depth=3
	s_or_b32 exec_lo, exec_lo, s37
	;;#ASMSTART
	s_wakeup
	;;#ASMEND
.LBB6_550:                              ;   in Loop: Header=BB6_483 Depth=3
	s_or_b32 exec_lo, exec_lo, s25
.LBB6_551:                              ;   in Loop: Header=BB6_483 Depth=3
	s_and_not1_saveexec_b32 s21, s21
	s_cbranch_execz .LBB6_553
; %bb.552:                              ;   in Loop: Header=BB6_483 Depth=3
	;;#ASMSTART
	s_waitcnt lgkmcnt(0) vmcnt(0)
	;;#ASMEND
	s_waitcnt lgkmcnt(0)
	s_waitcnt_vscnt null, 0x0
	s_barrier
.LBB6_553:                              ;   in Loop: Header=BB6_483 Depth=3
	s_or_b32 exec_lo, exec_lo, s21
	v_and_b32_e32 v2, 16, v30
.LBB6_554:                              ;   in Loop: Header=BB6_483 Depth=3
	s_and_not1_saveexec_b32 s21, s13
	s_cbranch_execz .LBB6_559
; %bb.555:                              ;   in Loop: Header=BB6_483 Depth=3
	s_cbranch_execnz .LBB6_1570
; %bb.556:                              ;   in Loop: Header=BB6_483 Depth=3
	ds_load_b32 v2, v0
	v_cmp_lt_i32_e32 vcc_lo, 0, v8
	s_waitcnt lgkmcnt(0)
	v_readfirstlane_b32 s13, v2
	v_and_b32_e32 v2, 16, v30
	s_delay_alu instid0(VALU_DEP_2) | instskip(NEXT) | instid1(VALU_DEP_1)
	s_cmp_eq_u32 s13, 0
	v_cmp_ne_u32_e64 s13, 0, v2
	s_cselect_b32 s25, -1, 0
	v_and_b32_e32 v2, 16, v30
	s_and_b32 s25, vcc_lo, s25
	s_delay_alu instid0(VALU_DEP_2) | instid1(SALU_CYCLE_1)
	s_and_b32 s25, s13, s25
	s_delay_alu instid0(SALU_CYCLE_1)
	s_and_saveexec_b32 s13, s25
	s_cbranch_execz .LBB6_558
; %bb.557:                              ;   in Loop: Header=BB6_483 Depth=3
	v_mov_b32_e32 v2, 1
	s_waitcnt_vscnt null, 0x0
	buffer_gl1_inv
	buffer_gl0_inv
.LBB6_558:                              ;   in Loop: Header=BB6_483 Depth=3
	s_or_b32 exec_lo, exec_lo, s13
.LBB6_559:                              ;   in Loop: Header=BB6_483 Depth=3
	s_delay_alu instid0(SALU_CYCLE_1) | instskip(NEXT) | instid1(VALU_DEP_1)
	s_or_b32 exec_lo, exec_lo, s21
	v_cmp_ne_u32_e32 vcc_lo, 0, v2
	s_xor_b32 s13, s6, -1
	s_delay_alu instid0(SALU_CYCLE_1) | instskip(NEXT) | instid1(SALU_CYCLE_1)
	s_and_b32 s21, vcc_lo, s13
	s_and_saveexec_b32 s13, s21
	s_cbranch_execz .LBB6_561
; %bb.560:                              ;   in Loop: Header=BB6_483 Depth=3
	s_waitcnt lgkmcnt(0)
	s_waitcnt_vscnt null, 0x0
	flat_store_b32 v[70:71], v9
.LBB6_561:                              ;   in Loop: Header=BB6_483 Depth=3
	s_or_b32 exec_lo, exec_lo, s13
	v_and_b32_e32 v2, 48, v30
	s_mov_b32 s13, exec_lo
	s_delay_alu instid0(VALU_DEP_1)
	v_cmpx_ne_u32_e32 0, v2
	s_cbranch_execz .LBB6_563
; %bb.562:                              ;   in Loop: Header=BB6_483 Depth=3
	v_add_co_u32 v66, vcc_lo, v66, 2
	v_add_co_ci_u32_e32 v67, vcc_lo, 0, v67, vcc_lo
	s_waitcnt lgkmcnt(0)
	s_waitcnt_vscnt null, 0x0
	flat_store_b64 v[64:65], v[66:67]
.LBB6_563:                              ;   in Loop: Header=BB6_483 Depth=3
	s_or_b32 exec_lo, exec_lo, s13
	v_add_nc_u32_e32 v10, v8, v10
	s_mov_b32 s13, 0
	s_mov_b32 s21, s14
	s_mov_b32 s14, s2
	s_mov_b32 s37, s4
	s_and_not1_b32 exec_lo, exec_lo, s17
	s_cbranch_execnz .LBB6_483
; %bb.564:                              ;   in Loop: Header=BB6_312 Depth=2
	s_or_b32 exec_lo, exec_lo, s17
.LBB6_565:                              ;   in Loop: Header=BB6_312 Depth=2
	s_delay_alu instid0(SALU_CYCLE_1) | instskip(SKIP_1) | instid1(SALU_CYCLE_1)
	s_or_b32 exec_lo, exec_lo, s16
	s_add_i32 s15, s15, 1
	s_cmp_eq_u32 s15, s27
	s_cbranch_scc0 .LBB6_312
; %bb.566:                              ;   in Loop: Header=BB6_55 Depth=1
	v_readlane_b32 s25, v74, 1
	s_mov_b32 s16, s12
	s_mov_b32 s12, s5
	;; [unrolled: 1-line block ×5, first 2 shown]
.LBB6_567:                              ;   in Loop: Header=BB6_55 Depth=1
	v_mov_b32_e32 v41, 1
	v_mul_lo_u32 v2, v97, s27
	v_mul_lo_u32 v10, v96, s29
	v_mad_u64_u32 v[8:9], null, v96, s27, 0
	v_mov_b32_e32 v112, 0
	s_mov_b32 s17, 0
	s_delay_alu instid0(VALU_DEP_2) | instskip(NEXT) | instid1(VALU_DEP_3)
	v_add3_u32 v9, v9, v10, v2
	v_sub_co_u32 v10, vcc_lo, v98, v8
	s_delay_alu instid0(VALU_DEP_2) | instskip(NEXT) | instid1(VALU_DEP_1)
	v_sub_co_ci_u32_e32 v11, vcc_lo, v99, v9, vcc_lo
	v_cmp_lt_i64_e32 vcc_lo, v[96:97], v[10:11]
	v_cndmask_b32_e32 v10, v10, v96, vcc_lo
	s_delay_alu instid0(VALU_DEP_1) | instskip(NEXT) | instid1(VALU_DEP_1)
	v_max_i32_e32 v103, 0, v10
	v_add_nc_u32_e32 v2, 31, v103
	s_delay_alu instid0(VALU_DEP_1) | instskip(NEXT) | instid1(VALU_DEP_1)
	v_lshrrev_b32_e32 v2, 1, v2
	v_and_b32_e32 v11, 0x3ffffff0, v2
	v_cmp_lt_i32_e32 vcc_lo, 0, v10
	v_mov_b32_e32 v2, 0
	s_delay_alu instid0(VALU_DEP_3) | instskip(SKIP_1) | instid1(SALU_CYCLE_1)
	v_max_i32_e32 v102, s19, v11
	s_and_b32 s4, s36, vcc_lo
	s_and_saveexec_b32 s2, s4
	s_cbranch_execz .LBB6_823
; %bb.568:                              ;   in Loop: Header=BB6_55 Depth=1
	v_add_co_u32 v8, vcc_lo, v8, v100
	v_add_co_ci_u32_e32 v9, vcc_lo, v9, v101, vcc_lo
	v_mov_b32_e32 v112, 0
	s_mov_b32 s13, 1
	s_mov_b32 s40, -1
	s_delay_alu instid0(VALU_DEP_2)
	v_lshlrev_b64 v[114:115], 3, v[8:9]
	v_writelane_b32 v74, s2, 2
.LBB6_569:                              ;   Parent Loop BB6_55 Depth=1
                                        ; =>  This Loop Header: Depth=2
                                        ;       Child Loop BB6_578 Depth 3
                                        ;       Child Loop BB6_610 Depth 3
	;; [unrolled: 1-line block ×5, first 2 shown]
                                        ;         Child Loop BB6_679 Depth 4
                                        ;       Child Loop BB6_695 Depth 3
                                        ;       Child Loop BB6_706 Depth 3
                                        ;         Child Loop BB6_707 Depth 4
                                        ;       Child Loop BB6_729 Depth 3
                                        ;       Child Loop BB6_740 Depth 3
	;; [unrolled: 1-line block ×6, first 2 shown]
	s_and_saveexec_b32 s2, s0
	s_cbranch_execz .LBB6_572
; %bb.570:                              ;   in Loop: Header=BB6_569 Depth=2
	s_cbranch_execnz .LBB6_1538
; %bb.571:                              ;   in Loop: Header=BB6_569 Depth=2
	ds_load_2addr_b64 v[8:11], v0 offset1:1
	ds_load_b64 v[12:13], v0
	v_ashrrev_i32_e32 v113, 31, v112
	s_mov_b32 s4, s13
	s_delay_alu instid0(VALU_DEP_1)
	v_lshlrev_b64 v[14:15], 3, v[112:113]
	s_waitcnt lgkmcnt(1)
	v_add_co_u32 v2, vcc_lo, v8, v114
	v_add_co_ci_u32_e32 v9, vcc_lo, v9, v115, vcc_lo
	v_add_co_u32 v10, vcc_lo, v10, v114
	v_add_co_ci_u32_e32 v11, vcc_lo, v11, v115, vcc_lo
	s_waitcnt lgkmcnt(0)
	v_add_co_u32 v16, vcc_lo, v12, v114
	v_add_co_ci_u32_e32 v17, vcc_lo, v13, v115, vcc_lo
	v_add_co_u32 v8, vcc_lo, v2, v14
	v_add_co_ci_u32_e32 v9, vcc_lo, v9, v15, vcc_lo
	s_delay_alu instid0(VALU_DEP_4) | instskip(NEXT) | instid1(VALU_DEP_4)
	v_add_co_u32 v2, vcc_lo, v16, v14
	v_add_co_ci_u32_e32 v16, vcc_lo, v17, v15, vcc_lo
	v_cmp_ne_u64_e32 vcc_lo, 0, v[12:13]
	v_add_co_u32 v10, s13, v10, v14
	s_delay_alu instid0(VALU_DEP_1)
	v_add_co_ci_u32_e64 v11, s13, v11, v15, s13
	s_mov_b32 s13, s4
	v_dual_cndmask_b32 v13, 0, v16 :: v_dual_cndmask_b32 v12, 0, v2
	ds_store_b64 v0, v[8:9]
	ds_store_b64 v0, v[10:11]
	;; [unrolled: 1-line block ×3, first 2 shown]
.LBB6_572:                              ;   in Loop: Header=BB6_569 Depth=2
	s_or_b32 exec_lo, exec_lo, s2
	v_and_b32_e32 v2, 12, v30
	s_mov_b32 s38, -1
	s_mov_b32 s2, exec_lo
	s_delay_alu instid0(VALU_DEP_1)
	v_cmpx_ne_u32_e32 0, v2
	s_cbranch_execz .LBB6_586
; %bb.573:                              ;   in Loop: Header=BB6_569 Depth=2
	v_and_b32_e32 v2, 8, v30
	s_mov_b32 s4, s25
	s_mov_b32 s12, s16
	s_mov_b32 s15, s40
	s_mov_b32 s16, s17
	v_add_co_u32 v10, vcc_lo, v82, v2
	v_add_co_ci_u32_e32 v11, vcc_lo, 0, v83, vcc_lo
	v_add_co_u32 v8, vcc_lo, v66, 2
	v_add_co_ci_u32_e32 v9, vcc_lo, 0, v67, vcc_lo
	s_mov_b32 s17, s37
	s_delay_alu instid0(VALU_DEP_1)
	v_cmp_lt_u64_e32 vcc_lo, v[10:11], v[8:9]
	v_mov_b32_e32 v10, 1
	s_and_saveexec_b32 s25, vcc_lo
	s_cbranch_execz .LBB6_585
; %bb.574:                              ;   in Loop: Header=BB6_569 Depth=2
	v_mov_b32_e32 v10, 0
	s_mov_b32 s37, 0
                                        ; implicit-def: $sgpr38
	s_branch .LBB6_578
.LBB6_575:                              ;   in Loop: Header=BB6_578 Depth=3
	s_or_b32 exec_lo, exec_lo, s43
	v_mov_b32_e32 v11, 0
	s_or_not1_b32 s42, s42, exec_lo
.LBB6_576:                              ;   in Loop: Header=BB6_578 Depth=3
	s_or_b32 exec_lo, exec_lo, s40
	s_delay_alu instid0(VALU_DEP_1) | instskip(SKIP_2) | instid1(SALU_CYCLE_1)
	v_mov_b32_e32 v10, v11
	s_and_not1_b32 vcc_lo, s38, exec_lo
	s_and_b32 s38, s42, exec_lo
	s_or_b32 s38, vcc_lo, s38
.LBB6_577:                              ;   in Loop: Header=BB6_578 Depth=3
	s_or_b32 exec_lo, exec_lo, s39
	s_waitcnt vmcnt(0) lgkmcnt(0)
	v_add_co_u32 v11, vcc_lo, v82, v2
	v_add_co_ci_u32_e32 v12, vcc_lo, 0, v83, vcc_lo
	s_xor_b32 s39, s38, -1
	s_delay_alu instid0(VALU_DEP_1) | instskip(SKIP_1) | instid1(SALU_CYCLE_1)
	v_cmp_ge_u64_e32 vcc_lo, v[11:12], v[8:9]
	s_or_b32 vcc_lo, s39, vcc_lo
	s_and_b32 vcc_lo, exec_lo, vcc_lo
	s_delay_alu instid0(SALU_CYCLE_1) | instskip(NEXT) | instid1(SALU_CYCLE_1)
	s_or_b32 s37, vcc_lo, s37
	s_and_not1_b32 exec_lo, exec_lo, s37
	s_cbranch_execz .LBB6_584
.LBB6_578:                              ;   Parent Loop BB6_55 Depth=1
                                        ;     Parent Loop BB6_569 Depth=2
                                        ; =>    This Inner Loop Header: Depth=3
	s_sleep 1
	flat_load_b64 v[82:83], v[64:65] glc
	v_and_b32_e32 v11, 64, v30
	s_and_not1_b32 s38, s38, exec_lo
	s_mov_b32 s39, exec_lo
	s_delay_alu instid0(VALU_DEP_1)
	v_cmpx_eq_u32_e32 0, v11
	s_cbranch_execz .LBB6_577
; %bb.579:                              ;   in Loop: Header=BB6_578 Depth=3
	v_add_nc_u32_e32 v11, 1, v10
	s_mov_b32 s42, -1
	s_mov_b32 s40, exec_lo
	v_cmpx_lt_i32_e32 0x270e, v10
	s_cbranch_execz .LBB6_576
; %bb.580:                              ;   in Loop: Header=BB6_578 Depth=3
	s_cbranch_execnz .LBB6_1564
; %bb.581:                              ;   in Loop: Header=BB6_578 Depth=3
	ds_load_b64 v[10:11], v0
	s_mov_b32 s43, exec_lo
	s_waitcnt vmcnt(0) lgkmcnt(0)
	s_waitcnt_vscnt null, 0x0
	flat_load_b32 v10, v[10:11] glc
	s_waitcnt vmcnt(0) lgkmcnt(0)
	buffer_gl1_inv
	buffer_gl0_inv
	v_cmpx_ne_u32_e32 0, v10
	s_cbranch_execz .LBB6_575
; %bb.582:                              ;   in Loop: Header=BB6_578 Depth=3
	ds_store_b32 v0, v10
	s_cbranch_execnz .LBB6_1618
; %bb.583:                              ;   in Loop: Header=BB6_578 Depth=3
	v_or_b32_e32 v30, 64, v30
	s_xor_b32 s42, exec_lo, -1
	s_branch .LBB6_575
.LBB6_584:                              ;   in Loop: Header=BB6_569 Depth=2
	s_or_b32 exec_lo, exec_lo, s37
	v_and_b32_e32 v10, 12, v30
.LBB6_585:                              ;   in Loop: Header=BB6_569 Depth=2
	s_or_b32 exec_lo, exec_lo, s25
	s_delay_alu instid0(VALU_DEP_1)
	v_cmp_eq_u32_e32 vcc_lo, 0, v10
	s_mov_b32 s37, s17
	s_mov_b32 s17, s16
	;; [unrolled: 1-line block ×4, first 2 shown]
	s_or_not1_b32 s38, vcc_lo, exec_lo
	s_mov_b32 s25, s4
	;;#ASMSTART
	s_wakeup
	;;#ASMEND
.LBB6_586:                              ;   in Loop: Header=BB6_569 Depth=2
	s_or_b32 exec_lo, exec_lo, s2
	v_sub_nc_u32_e32 v2, v103, v112
	s_xor_b32 s4, s38, -1
	s_delay_alu instid0(VALU_DEP_1)
	v_min_i32_e32 v102, v102, v2
	s_and_saveexec_b32 s2, s4
	s_cbranch_execz .LBB6_601
; %bb.587:                              ;   in Loop: Header=BB6_569 Depth=2
	v_mov_b32_e32 v2, v103
	v_and_b32_e32 v8, 0x108, v30
	s_mov_b32 s39, s10
	s_mov_b32 s38, s5
	;; [unrolled: 1-line block ×8, first 2 shown]
	s_mov_b32 s13, exec_lo
	v_cmpx_ne_u32_e32 0x108, v8
	s_xor_b32 s13, exec_lo, s13
                                        ; implicit-def: $vgpr8_vgpr9
; %bb.588:                              ;   in Loop: Header=BB6_569 Depth=2
	v_and_b32_e32 v8, 7, v66
; %bb.589:                              ;   in Loop: Header=BB6_569 Depth=2
	s_and_not1_saveexec_b32 s13, s13
	s_cbranch_execz .LBB6_591
; %bb.590:                              ;   in Loop: Header=BB6_569 Depth=2
	v_and_b32_e32 v8, 7, v66
	v_ashrrev_i32_e32 v103, 31, v102
	s_delay_alu instid0(VALU_DEP_2) | instskip(NEXT) | instid1(VALU_DEP_2)
	v_mad_u64_u32 v[9:10], null, v8, 24, v[6:7]
	v_lshlrev_b64 v[11:12], 3, v[102:103]
	flat_store_b64 v[9:10], v[11:12] offset:8
.LBB6_591:                              ;   in Loop: Header=BB6_569 Depth=2
	s_or_b32 exec_lo, exec_lo, s13
	v_and_b32_e32 v9, 0x100, v30
	s_mov_b32 s13, -1
	s_delay_alu instid0(VALU_DEP_1)
	v_cmp_ne_u32_e32 vcc_lo, 0, v9
                                        ; implicit-def: $vgpr9_vgpr10
	s_and_saveexec_b32 s14, vcc_lo
	s_cbranch_execz .LBB6_596
; %bb.592:                              ;   in Loop: Header=BB6_569 Depth=2
	v_mad_u64_u32 v[11:12], null, v8, 24, v[6:7]
	s_delay_alu instid0(VALU_DEP_1) | instskip(NEXT) | instid1(VALU_DEP_1)
	v_mov_b32_e32 v9, v12
	v_mad_u64_u32 v[12:13], null, v3, 24, v[9:10]
	flat_load_b32 v9, v[11:12]
	s_waitcnt vmcnt(0) lgkmcnt(0)
	v_cmp_ne_u32_e32 vcc_lo, 1, v9
	v_cmp_eq_u32_e64 s13, 1, v9
                                        ; implicit-def: $vgpr9_vgpr10
	s_delay_alu instid0(VALU_DEP_1)
	s_and_saveexec_b32 s16, s13
	s_cbranch_execz .LBB6_594
; %bb.593:                              ;   in Loop: Header=BB6_569 Depth=2
	flat_load_b32 v9, v[11:12] offset:4 glc
	s_waitcnt vmcnt(0) lgkmcnt(0)
	v_ashrrev_i32_e32 v10, 31, v9
	s_delay_alu instid0(VALU_DEP_1)
	v_lshrrev_b64 v[9:10], 3, v[9:10]
.LBB6_594:                              ;   in Loop: Header=BB6_569 Depth=2
	s_or_b32 exec_lo, exec_lo, s16
	s_delay_alu instid0(SALU_CYCLE_1)
	s_or_not1_b32 s13, vcc_lo, exec_lo
	s_or_b32 exec_lo, exec_lo, s14
	s_and_saveexec_b32 s14, s13
	s_cbranch_execnz .LBB6_597
.LBB6_595:                              ;   in Loop: Header=BB6_569 Depth=2
	s_or_b32 exec_lo, exec_lo, s14
	s_cbranch_execz .LBB6_598
	s_branch .LBB6_1558
.LBB6_596:                              ;   in Loop: Header=BB6_569 Depth=2
	s_or_b32 exec_lo, exec_lo, s14
	s_and_saveexec_b32 s14, s13
	s_cbranch_execz .LBB6_595
.LBB6_597:                              ;   in Loop: Header=BB6_569 Depth=2
	v_mul_lo_u32 v11, v3, v145
	v_mul_lo_u32 v12, v8, v146
	v_mad_u64_u32 v[9:10], null, v8, v145, 0
	s_delay_alu instid0(VALU_DEP_1)
	v_add3_u32 v10, v10, v12, v11
	s_or_b32 exec_lo, exec_lo, s14
	s_cbranch_execnz .LBB6_1558
.LBB6_598:                              ;   in Loop: Header=BB6_569 Depth=2
	s_delay_alu instid0(VALU_DEP_1) | instskip(SKIP_2) | instid1(VALU_DEP_2)
	v_lshlrev_b64 v[8:9], 3, v[9:10]
	v_and_b32_e32 v10, 0x2000, v30
	s_mov_b32 s13, exec_lo
	v_add_co_u32 v8, vcc_lo, v68, v8
	s_delay_alu instid0(VALU_DEP_3)
	v_add_co_ci_u32_e32 v9, vcc_lo, v69, v9, vcc_lo
	ds_store_b64 v0, v[8:9]
	v_cmpx_ne_u32_e32 0, v10
	s_cbranch_execz .LBB6_600
; %bb.599:                              ;   in Loop: Header=BB6_569 Depth=2
	ds_load_b64 v[8:9], v0 offset:584
	s_waitcnt lgkmcnt(0)
	v_add_co_u32 v8, vcc_lo, v8, 1
	v_add_co_ci_u32_e32 v9, vcc_lo, 0, v9, vcc_lo
	ds_store_b64 v0, v[8:9] offset:584
.LBB6_600:                              ;   in Loop: Header=BB6_569 Depth=2
	s_or_b32 exec_lo, exec_lo, s13
	v_add_co_u32 v66, vcc_lo, v66, 2
	v_add_co_ci_u32_e32 v67, vcc_lo, 0, v67, vcc_lo
	v_mov_b32_e32 v103, v2
	s_mov_b32 s14, s4
	s_mov_b32 s37, s6
	;; [unrolled: 1-line block ×8, first 2 shown]
.LBB6_601:                              ;   in Loop: Header=BB6_569 Depth=2
	s_mov_b32 s4, s6
	s_delay_alu instid0(SALU_CYCLE_1)
	v_writelane_b32 v74, s4, 3
	v_writelane_b32 v74, s40, 4
	;; [unrolled: 1-line block ×17, first 2 shown]
	s_or_b32 exec_lo, exec_lo, s2
	s_and_saveexec_b32 s2, s3
	s_mov_b32 s6, s5
	s_mov_b32 s5, s25
	;; [unrolled: 1-line block ×4, first 2 shown]
	s_cbranch_execz .LBB6_623
; %bb.602:                              ;   in Loop: Header=BB6_569 Depth=2
	s_and_saveexec_b32 s4, s41
	s_delay_alu instid0(SALU_CYCLE_1)
	s_xor_b32 s4, exec_lo, s4
	s_cbranch_execz .LBB6_620
; %bb.603:                              ;   in Loop: Header=BB6_569 Depth=2
	s_and_saveexec_b32 s11, s1
	s_cbranch_execz .LBB6_619
; %bb.604:                              ;   in Loop: Header=BB6_569 Depth=2
	s_mov_b32 s14, exec_lo
	s_mov_b32 s13, exec_lo
	v_mbcnt_lo_u32_b32 v2, s14, 0
	s_waitcnt lgkmcnt(0)
	s_waitcnt_vscnt null, 0x0
	buffer_gl1_inv
	buffer_gl0_inv
	v_cmpx_eq_u32_e32 0, v2
	s_cbranch_execz .LBB6_606
; %bb.605:                              ;   in Loop: Header=BB6_569 Depth=2
	s_bcnt1_i32_b32 s14, s14
	s_delay_alu instid0(SALU_CYCLE_1)
	v_mov_b32_e32 v2, s14
	ds_add_u64 v0, v[2:3]
	s_cbranch_execnz .LBB6_1672
.LBB6_606:                              ;   in Loop: Header=BB6_569 Depth=2
	s_or_b32 exec_lo, exec_lo, s13
	s_cbranch_execnz .LBB6_1646
; %bb.607:                              ;   in Loop: Header=BB6_569 Depth=2
	ds_load_b64 v[8:9], v0
	v_add_co_u32 v80, vcc_lo, v80, v147
	v_add_co_ci_u32_e32 v81, vcc_lo, 0, v81, vcc_lo
	s_mov_b32 s13, exec_lo
	s_waitcnt lgkmcnt(0)
	s_delay_alu instid0(VALU_DEP_1)
	v_cmpx_lt_u64_e64 v[8:9], v[80:81]
	s_cbranch_execz .LBB6_618
; %bb.608:                              ;   in Loop: Header=BB6_569 Depth=2
	s_mov_b32 s14, 0
	s_mov_b32 s17, 0
                                        ; implicit-def: $sgpr15
                                        ; implicit-def: $sgpr16
	s_branch .LBB6_610
.LBB6_609:                              ;   in Loop: Header=BB6_610 Depth=3
	s_or_b32 exec_lo, exec_lo, s20
	s_delay_alu instid0(SALU_CYCLE_1) | instskip(NEXT) | instid1(SALU_CYCLE_1)
	s_and_b32 s18, exec_lo, s19
	s_or_b32 s14, s18, s14
	s_and_not1_b32 s15, s15, exec_lo
	s_and_b32 s18, s16, exec_lo
	s_delay_alu instid0(SALU_CYCLE_1)
	s_or_b32 s15, s15, s18
	s_and_not1_b32 exec_lo, exec_lo, s14
	s_cbranch_execz .LBB6_616
.LBB6_610:                              ;   Parent Loop BB6_55 Depth=1
                                        ;     Parent Loop BB6_569 Depth=2
                                        ; =>    This Inner Loop Header: Depth=3
	s_add_i32 s17, s17, 1
                                        ; implicit-def: $sgpr19
	s_delay_alu instid0(SALU_CYCLE_1) | instskip(SKIP_1) | instid1(SALU_CYCLE_1)
	s_cmpk_lg_i32 s17, 0x2710
	s_cselect_b32 s18, -1, 0
	s_and_b32 vcc_lo, exec_lo, s18
	s_cbranch_vccz .LBB6_614
.LBB6_611:                              ;   in Loop: Header=BB6_610 Depth=3
	s_and_not1_b32 s16, s16, exec_lo
	s_and_b32 s20, s19, exec_lo
	s_mov_b32 s19, -1
	s_or_b32 s16, s16, s20
	s_and_saveexec_b32 s20, s18
	s_cbranch_execz .LBB6_609
; %bb.612:                              ;   in Loop: Header=BB6_610 Depth=3
	s_sleep 1
	s_cbranch_execnz .LBB6_1720
; %bb.613:                              ;   in Loop: Header=BB6_610 Depth=3
	ds_load_b64 v[8:9], v0
	s_and_not1_b32 s16, s16, exec_lo
	s_waitcnt lgkmcnt(0)
	v_cmp_ge_u64_e32 vcc_lo, v[8:9], v[80:81]
	s_or_not1_b32 s19, vcc_lo, exec_lo
	s_branch .LBB6_609
.LBB6_614:                              ;   in Loop: Header=BB6_610 Depth=3
	s_cbranch_execnz .LBB6_1734
; %bb.615:                              ;   in Loop: Header=BB6_610 Depth=3
	ds_load_b64 v[8:9], v0
	s_and_not1_b32 s18, s18, exec_lo
	s_mov_b32 s17, 0
	s_mov_b32 s19, -1
	s_waitcnt lgkmcnt(0)
	flat_load_b32 v2, v[8:9] glc
	s_waitcnt vmcnt(0) lgkmcnt(0)
	buffer_gl1_inv
	buffer_gl0_inv
	v_cmp_eq_u32_e32 vcc_lo, 0, v2
	s_and_b32 s20, vcc_lo, exec_lo
	s_delay_alu instid0(SALU_CYCLE_1)
	s_or_b32 s18, s18, s20
	s_branch .LBB6_611
.LBB6_616:                              ;   in Loop: Header=BB6_569 Depth=2
	s_or_b32 exec_lo, exec_lo, s14
	s_and_saveexec_b32 s14, s15
	s_delay_alu instid0(SALU_CYCLE_1)
	s_xor_b32 s14, exec_lo, s14
	s_cbranch_execz .LBB6_618
; %bb.617:                              ;   in Loop: Header=BB6_569 Depth=2
	ds_store_b32 v0, v41
	s_cbranch_execnz .LBB6_1926
.LBB6_618:                              ;   in Loop: Header=BB6_569 Depth=2
	s_or_b32 exec_lo, exec_lo, s13
	;;#ASMSTART
	s_wakeup
	;;#ASMEND
.LBB6_619:                              ;   in Loop: Header=BB6_569 Depth=2
	s_or_b32 exec_lo, exec_lo, s11
.LBB6_620:                              ;   in Loop: Header=BB6_569 Depth=2
	s_and_not1_saveexec_b32 s4, s4
	s_cbranch_execz .LBB6_622
; %bb.621:                              ;   in Loop: Header=BB6_569 Depth=2
	s_waitcnt lgkmcnt(0)
	s_waitcnt_vscnt null, 0x0
	buffer_gl1_inv
	buffer_gl0_inv
	s_barrier
.LBB6_622:                              ;   in Loop: Header=BB6_569 Depth=2
	s_or_b32 exec_lo, exec_lo, s4
.LBB6_623:                              ;   in Loop: Header=BB6_569 Depth=2
	s_delay_alu instid0(SALU_CYCLE_1)
	s_or_b32 exec_lo, exec_lo, s2
	s_cbranch_execnz .LBB6_1544
; %bb.624:                              ;   in Loop: Header=BB6_569 Depth=2
	ds_load_b32 v8, v0
	v_and_b32_e32 v2, 0x4000, v30
	v_readlane_b32 s2, v74, 0
	s_delay_alu instid0(VALU_DEP_2) | instskip(NEXT) | instid1(VALU_DEP_2)
	v_cmp_ne_u32_e32 vcc_lo, 0, v2
	s_xor_b32 s2, s2, -1
	s_delay_alu instid0(SALU_CYCLE_1) | instskip(NEXT) | instid1(SALU_CYCLE_1)
	s_and_b32 s4, s2, vcc_lo
	s_and_saveexec_b32 s2, s4
	s_cbranch_execz .LBB6_646
; %bb.625:                              ;   in Loop: Header=BB6_569 Depth=2
	s_and_saveexec_b32 s4, s41
	s_delay_alu instid0(SALU_CYCLE_1)
	s_xor_b32 s4, exec_lo, s4
	s_cbranch_execz .LBB6_643
; %bb.626:                              ;   in Loop: Header=BB6_569 Depth=2
	s_and_saveexec_b32 s11, s1
	s_cbranch_execz .LBB6_642
; %bb.627:                              ;   in Loop: Header=BB6_569 Depth=2
	s_mov_b32 s14, exec_lo
	s_mov_b32 s13, exec_lo
	v_mbcnt_lo_u32_b32 v2, s14, 0
	s_waitcnt lgkmcnt(0)
	s_waitcnt_vscnt null, 0x0
	buffer_gl1_inv
	buffer_gl0_inv
	v_cmpx_eq_u32_e32 0, v2
	s_cbranch_execz .LBB6_629
; %bb.628:                              ;   in Loop: Header=BB6_569 Depth=2
	s_bcnt1_i32_b32 s14, s14
	s_delay_alu instid0(SALU_CYCLE_1)
	v_mov_b32_e32 v2, s14
	ds_add_u64 v0, v[2:3]
	s_cbranch_execnz .LBB6_1712
.LBB6_629:                              ;   in Loop: Header=BB6_569 Depth=2
	s_or_b32 exec_lo, exec_lo, s13
	s_cbranch_execnz .LBB6_1682
; %bb.630:                              ;   in Loop: Header=BB6_569 Depth=2
	ds_load_b64 v[9:10], v0
	v_add_co_u32 v80, vcc_lo, v80, v147
	v_add_co_ci_u32_e32 v81, vcc_lo, 0, v81, vcc_lo
	s_mov_b32 s13, exec_lo
	s_waitcnt lgkmcnt(0)
	s_delay_alu instid0(VALU_DEP_1)
	v_cmpx_lt_u64_e64 v[9:10], v[80:81]
	s_cbranch_execz .LBB6_641
; %bb.631:                              ;   in Loop: Header=BB6_569 Depth=2
	s_mov_b32 s14, 0
	s_mov_b32 s17, 0
                                        ; implicit-def: $sgpr15
                                        ; implicit-def: $sgpr16
	s_branch .LBB6_633
.LBB6_632:                              ;   in Loop: Header=BB6_633 Depth=3
	s_or_b32 exec_lo, exec_lo, s20
	s_delay_alu instid0(SALU_CYCLE_1) | instskip(NEXT) | instid1(SALU_CYCLE_1)
	s_and_b32 s18, exec_lo, s19
	s_or_b32 s14, s18, s14
	s_and_not1_b32 s15, s15, exec_lo
	s_and_b32 s18, s16, exec_lo
	s_delay_alu instid0(SALU_CYCLE_1)
	s_or_b32 s15, s15, s18
	s_and_not1_b32 exec_lo, exec_lo, s14
	s_cbranch_execz .LBB6_639
.LBB6_633:                              ;   Parent Loop BB6_55 Depth=1
                                        ;     Parent Loop BB6_569 Depth=2
                                        ; =>    This Inner Loop Header: Depth=3
	s_add_i32 s17, s17, 1
                                        ; implicit-def: $sgpr19
	s_delay_alu instid0(SALU_CYCLE_1) | instskip(SKIP_1) | instid1(SALU_CYCLE_1)
	s_cmpk_lg_i32 s17, 0x2710
	s_cselect_b32 s18, -1, 0
	s_and_b32 vcc_lo, exec_lo, s18
	s_cbranch_vccz .LBB6_637
.LBB6_634:                              ;   in Loop: Header=BB6_633 Depth=3
	s_and_not1_b32 s16, s16, exec_lo
	s_and_b32 s20, s19, exec_lo
	s_mov_b32 s19, -1
	s_or_b32 s16, s16, s20
	s_and_saveexec_b32 s20, s18
	s_cbranch_execz .LBB6_632
; %bb.635:                              ;   in Loop: Header=BB6_633 Depth=3
	s_sleep 1
	s_cbranch_execnz .LBB6_1772
; %bb.636:                              ;   in Loop: Header=BB6_633 Depth=3
	ds_load_b64 v[9:10], v0
	s_and_not1_b32 s16, s16, exec_lo
	s_waitcnt lgkmcnt(0)
	v_cmp_ge_u64_e32 vcc_lo, v[9:10], v[80:81]
	s_or_not1_b32 s19, vcc_lo, exec_lo
	s_branch .LBB6_632
.LBB6_637:                              ;   in Loop: Header=BB6_633 Depth=3
	s_cbranch_execnz .LBB6_1788
; %bb.638:                              ;   in Loop: Header=BB6_633 Depth=3
	ds_load_b64 v[9:10], v0
	s_and_not1_b32 s18, s18, exec_lo
	s_mov_b32 s17, 0
	s_mov_b32 s19, -1
	s_waitcnt lgkmcnt(0)
	flat_load_b32 v2, v[9:10] glc
	s_waitcnt vmcnt(0) lgkmcnt(0)
	buffer_gl1_inv
	buffer_gl0_inv
	v_cmp_eq_u32_e32 vcc_lo, 0, v2
	s_and_b32 s20, vcc_lo, exec_lo
	s_delay_alu instid0(SALU_CYCLE_1)
	s_or_b32 s18, s18, s20
	s_branch .LBB6_634
.LBB6_639:                              ;   in Loop: Header=BB6_569 Depth=2
	s_or_b32 exec_lo, exec_lo, s14
	s_and_saveexec_b32 s14, s15
	s_delay_alu instid0(SALU_CYCLE_1)
	s_xor_b32 s14, exec_lo, s14
	s_cbranch_execz .LBB6_641
; %bb.640:                              ;   in Loop: Header=BB6_569 Depth=2
	ds_store_b32 v0, v41
	s_cbranch_execnz .LBB6_1950
.LBB6_641:                              ;   in Loop: Header=BB6_569 Depth=2
	s_or_b32 exec_lo, exec_lo, s13
	;;#ASMSTART
	s_wakeup
	;;#ASMEND
.LBB6_642:                              ;   in Loop: Header=BB6_569 Depth=2
	s_or_b32 exec_lo, exec_lo, s11
.LBB6_643:                              ;   in Loop: Header=BB6_569 Depth=2
	s_and_not1_saveexec_b32 s4, s4
	s_cbranch_execz .LBB6_645
; %bb.644:                              ;   in Loop: Header=BB6_569 Depth=2
	s_waitcnt lgkmcnt(0)
	s_waitcnt_vscnt null, 0x0
	buffer_gl1_inv
	buffer_gl0_inv
	s_barrier
.LBB6_645:                              ;   in Loop: Header=BB6_569 Depth=2
	s_or_b32 exec_lo, exec_lo, s4
.LBB6_646:                              ;   in Loop: Header=BB6_569 Depth=2
	s_delay_alu instid0(SALU_CYCLE_1)
	s_or_b32 exec_lo, exec_lo, s2
	s_cbranch_execnz .LBB6_1578
; %bb.647:                              ;   in Loop: Header=BB6_569 Depth=2
	ds_load_b64 v[9:10], v0
	v_mov_b32_e32 v113, 0
	s_waitcnt lgkmcnt(0)
	v_cmp_eq_u64_e32 vcc_lo, 0, v[9:10]
	s_or_b32 s2, vcc_lo, vcc_lo
	s_delay_alu instid0(SALU_CYCLE_1)
	s_and_b32 vcc_lo, exec_lo, s2
	s_cbranch_vccnz .LBB6_769
; %bb.648:                              ;   in Loop: Header=BB6_569 Depth=2
	v_cmp_eq_u32_e32 vcc_lo, 0, v8
	s_cbranch_execnz .LBB6_1638
; %bb.649:                              ;   in Loop: Header=BB6_569 Depth=2
	ds_load_b64 v[42:43], v0
	v_cndmask_b32_e32 v113, 0, v102, vcc_lo
	s_mov_b32 s2, -1
	s_waitcnt lgkmcnt(0)
	v_cmp_ne_u64_e32 vcc_lo, 0, v[42:43]
	s_delay_alu instid0(VALU_DEP_2)
	v_lshlrev_b32_e32 v43, 3, v113
	s_cbranch_vccz .LBB6_711
; %bb.650:                              ;   in Loop: Header=BB6_569 Depth=2
	s_and_saveexec_b32 s4, s12
	s_cbranch_execz .LBB6_652
; %bb.651:                              ;   in Loop: Header=BB6_569 Depth=2
	ds_load_b32 v2, v0 offset:720
	s_waitcnt lgkmcnt(0)
	v_and_b32_e32 v2, 15, v2
	s_delay_alu instid0(VALU_DEP_1)
	v_cmp_eq_u32_e32 vcc_lo, 0, v2
	s_or_not1_b32 s2, vcc_lo, exec_lo
.LBB6_652:                              ;   in Loop: Header=BB6_569 Depth=2
	s_or_b32 exec_lo, exec_lo, s4
	s_and_saveexec_b32 s4, s12
	s_cbranch_execz .LBB6_654
; %bb.653:                              ;   in Loop: Header=BB6_569 Depth=2
	ds_load_b32 v2, v0 offset:784
	s_waitcnt lgkmcnt(0)
	v_and_b32_e32 v2, 15, v2
	s_delay_alu instid0(VALU_DEP_1) | instskip(SKIP_3) | instid1(SALU_CYCLE_1)
	v_cmp_eq_u32_e32 vcc_lo, 0, v2
	s_and_b32 s11, s2, vcc_lo
	s_and_not1_b32 s2, s2, exec_lo
	s_and_b32 s11, s11, exec_lo
	s_or_b32 s2, s2, s11
.LBB6_654:                              ;   in Loop: Header=BB6_569 Depth=2
	s_or_b32 exec_lo, exec_lo, s4
	s_xor_b32 s2, s2, -1
	s_mov_b32 s19, -1
	v_cndmask_b32_e64 v2, 0, 1, s2
	;;#ASMSTART
	;;#ASMEND
	s_delay_alu instid0(VALU_DEP_1)
	v_cmp_ne_u32_e32 vcc_lo, 0, v2
	s_cbranch_vccz .LBB6_656
; %bb.655:                              ;   in Loop: Header=BB6_569 Depth=2
	v_alignbit_b32 v2, v42, v42, 1
	s_mov_b32 s19, 0
	s_mov_b32 s31, -1
	s_delay_alu instid0(VALU_DEP_1) | instskip(SKIP_1) | instid1(VALU_DEP_2)
	v_readfirstlane_b32 s2, v2
	v_readfirstlane_b32 s30, v2
	s_and_b32 s18, s2, 0x7fffffff
	s_delay_alu instid0(SALU_CYCLE_1)
	s_mov_b32 s22, s18
	s_branch .LBB6_657
.LBB6_656:                              ;   in Loop: Header=BB6_569 Depth=2
	s_mov_b32 s31, 0
                                        ; implicit-def: $sgpr30
.LBB6_657:                              ;   in Loop: Header=BB6_569 Depth=2
	s_and_not1_b32 vcc_lo, exec_lo, s19
	s_cbranch_vccnz .LBB6_661
; %bb.658:                              ;   in Loop: Header=BB6_569 Depth=2
	v_alignbit_b32 v2, v42, v42, 1
	v_mov_b32_e32 v117, -1
	v_mov_b32_e32 v118, -1
	s_delay_alu instid0(VALU_DEP_3) | instskip(SKIP_1) | instid1(VALU_DEP_2)
	v_readfirstlane_b32 s2, v2
	v_readfirstlane_b32 s30, v2
	s_and_b32 s22, s2, 0x7fffffff
	s_delay_alu instid0(SALU_CYCLE_1)
	s_cmp_lt_i32 s22, 1
	s_cbranch_scc1 .LBB6_664
; %bb.659:                              ;   in Loop: Header=BB6_569 Depth=2
	s_cmp_lg_u32 s22, 1
	s_cbranch_scc1 .LBB6_662
; %bb.660:                              ;   in Loop: Header=BB6_569 Depth=2
	s_mov_b32 s15, s25
	s_mov_b32 s14, s23
	s_mov_b64 s[16:17], 1
	s_branch .LBB6_663
.LBB6_661:                              ;   in Loop: Header=BB6_569 Depth=2
	v_dual_mov_b32 v19, s19 :: v_dual_mov_b32 v18, v43
	v_mov_b32_e32 v20, v149
	v_mov_b32_e32 v2, v148
	s_branch .LBB6_686
.LBB6_662:                              ;   in Loop: Header=BB6_569 Depth=2
	s_mov_b64 s[16:17], 3
	s_mov_b64 s[14:15], 0
.LBB6_663:                              ;   in Loop: Header=BB6_569 Depth=2
	v_cmp_lt_u64_e64 s2, s[16:17], s[22:23]
	s_or_b32 s4, s15, 2.0
	s_delay_alu instid0(VALU_DEP_1)
	s_and_b32 s2, s2, exec_lo
	s_cselect_b32 s2, s15, s4
	s_cselect_b32 s4, 0, s22
	s_cselect_b32 s11, 0, 0
	s_sub_u32 s16, s16, s4
	s_subb_u32 s17, s17, s11
	s_or_b32 s11, s2, 0x20000000
	s_lshl_b64 s[16:17], s[16:17], 1
	s_delay_alu instid0(SALU_CYCLE_1) | instskip(NEXT) | instid1(SALU_CYCLE_1)
	s_or_b32 s16, s16, 1
	v_cmp_lt_u64_e64 s4, s[16:17], s[22:23]
	s_delay_alu instid0(VALU_DEP_1)
	s_and_b32 s4, s4, exec_lo
	s_cselect_b32 s4, 0, s22
	s_cselect_b32 s2, s2, s11
	s_cselect_b32 s11, 0, 0
	s_sub_u32 s16, s16, s4
	s_subb_u32 s17, s17, s11
	s_or_b32 s11, s2, 0x10000000
	s_lshl_b64 s[16:17], s[16:17], 1
	s_delay_alu instid0(SALU_CYCLE_1) | instskip(NEXT) | instid1(SALU_CYCLE_1)
	s_or_b32 s16, s16, 1
	v_cmp_lt_u64_e64 s4, s[16:17], s[22:23]
	;; [unrolled: 12-line block ×30, first 2 shown]
	s_delay_alu instid0(VALU_DEP_1)
	s_and_b32 s4, s4, exec_lo
	s_cselect_b32 s4, 0, s22
	s_cselect_b32 s2, s2, s11
	;; [unrolled: 1-line block ×3, first 2 shown]
	s_sub_u32 s16, s16, s4
	s_subb_u32 s17, s17, s11
	s_or_b32 s11, s14, 0x80000000
	s_lshl_b64 s[16:17], s[16:17], 1
	v_mov_b32_e32 v118, s2
	s_or_b32 s16, s16, 1
	s_delay_alu instid0(SALU_CYCLE_1) | instskip(NEXT) | instid1(VALU_DEP_1)
	v_cmp_lt_u64_e64 s4, s[16:17], s[22:23]
	s_and_b32 s4, s4, exec_lo
	s_cselect_b32 s4, s14, s11
	s_cselect_b32 s11, 0, s22
	;; [unrolled: 1-line block ×3, first 2 shown]
	s_sub_u32 s14, s16, s11
	s_subb_u32 s15, s17, s13
	s_or_b32 s13, s4, 2.0
	s_lshl_b64 s[14:15], s[14:15], 1
	s_delay_alu instid0(SALU_CYCLE_1) | instskip(NEXT) | instid1(SALU_CYCLE_1)
	s_or_b32 s14, s14, 1
	v_cmp_lt_u64_e64 s11, s[14:15], s[22:23]
	s_delay_alu instid0(VALU_DEP_1)
	s_and_b32 s11, s11, exec_lo
	s_cselect_b32 s11, 0, s22
	s_cselect_b32 s4, s4, s13
	s_cselect_b32 s13, 0, 0
	s_sub_u32 s14, s14, s11
	s_subb_u32 s15, s15, s13
	s_or_b32 s13, s4, 0x20000000
	s_lshl_b64 s[14:15], s[14:15], 1
	s_delay_alu instid0(SALU_CYCLE_1) | instskip(NEXT) | instid1(SALU_CYCLE_1)
	s_or_b32 s14, s14, 1
	v_cmp_lt_u64_e64 s11, s[14:15], s[22:23]
	s_delay_alu instid0(VALU_DEP_1)
	s_and_b32 s11, s11, exec_lo
	s_cselect_b32 s11, 0, s22
	s_cselect_b32 s4, s4, s13
	s_cselect_b32 s13, 0, 0
	s_sub_u32 s14, s14, s11
	s_subb_u32 s15, s15, s13
	s_or_b32 s13, s4, 0x10000000
	;; [unrolled: 12-line block ×29, first 2 shown]
	s_lshl_b64 s[14:15], s[14:15], 1
	s_delay_alu instid0(SALU_CYCLE_1) | instskip(NEXT) | instid1(SALU_CYCLE_1)
	s_or_b32 s14, s14, 1
	v_cmp_lt_u64_e64 s11, s[14:15], s[22:23]
	s_delay_alu instid0(VALU_DEP_1)
	s_and_b32 s11, s11, exec_lo
	s_cselect_b32 s11, 0, s22
	s_cselect_b32 s4, s4, s13
	;; [unrolled: 1-line block ×3, first 2 shown]
	s_sub_u32 s14, s14, s11
	s_subb_u32 s15, s15, s13
	s_delay_alu instid0(SALU_CYCLE_1) | instskip(NEXT) | instid1(SALU_CYCLE_1)
	s_lshl_b64 s[14:15], s[14:15], 1
	s_or_b32 s14, s14, 1
	s_delay_alu instid0(SALU_CYCLE_1) | instskip(NEXT) | instid1(VALU_DEP_1)
	v_cmp_ge_u64_e64 s11, s[14:15], s[22:23]
	v_cndmask_b32_e64 v2, 0, 1, s11
	s_delay_alu instid0(VALU_DEP_1)
	v_or_b32_e32 v117, s4, v2
.LBB6_664:                              ;   in Loop: Header=BB6_569 Depth=2
	v_ashrrev_i32_e32 v2, 31, v43
	s_mov_b32 s11, exec_lo
	s_delay_alu instid0(VALU_DEP_1) | instskip(NEXT) | instid1(VALU_DEP_1)
	v_lshrrev_b32_e32 v2, 21, v2
	v_add_nc_u32_e32 v2, v43, v2
	s_delay_alu instid0(VALU_DEP_1) | instskip(NEXT) | instid1(VALU_DEP_1)
	v_ashrrev_i32_e32 v45, 11, v2
	v_sub_nc_u32_e32 v44, v45, v148
	s_delay_alu instid0(VALU_DEP_1)
	v_cmpx_lt_i32_e32 0, v44
	s_cbranch_execz .LBB6_669
; %bb.665:                              ;   in Loop: Header=BB6_569 Depth=2
	s_cbranch_execnz .LBB6_1794
; %bb.666:                              ;   in Loop: Header=BB6_569 Depth=2
	ds_load_b128 v[8:11], v0
	s_cmp_lt_i32 s30, 0
	s_mov_b32 s24, 0
	s_cselect_b32 s34, -1, 0
	s_waitcnt lgkmcnt(0)
	v_add_co_u32 v128, vcc_lo, v8, v182
	v_add_co_ci_u32_e32 v129, vcc_lo, v9, v183, vcc_lo
	v_add_co_u32 v130, vcc_lo, v10, v182
	v_add_co_ci_u32_e32 v131, vcc_lo, v11, v183, vcc_lo
	v_mov_b32_e32 v46, v118
	s_delay_alu instid0(VALU_DEP_4) | instskip(NEXT) | instid1(VALU_DEP_3)
	v_dual_mov_b32 v118, v128 :: v_dual_mov_b32 v119, v129
	v_dual_mov_b32 v133, v131 :: v_dual_mov_b32 v132, v130
.LBB6_667:                              ;   Parent Loop BB6_55 Depth=1
                                        ;     Parent Loop BB6_569 Depth=2
                                        ; =>    This Inner Loop Header: Depth=3
	global_load_b128 v[36:39], v[130:131], off slc dlc
	s_clause 0x1
	global_load_b128 v[48:51], v[128:129], off slc dlc
	global_load_b128 v[24:27], v[128:129], off offset:512 slc dlc
	s_clause 0x1
	global_load_b128 v[32:35], v[130:131], off offset:512 slc dlc
	global_load_b128 v[16:19], v[130:131], off offset:1024 slc dlc
	s_clause 0x1
	global_load_b128 v[20:23], v[128:129], off offset:1024 slc dlc
	global_load_b128 v[8:11], v[128:129], off offset:1536 slc dlc
	;; [unrolled: 1-line block ×3, first 2 shown]
	v_dual_mov_b32 v135, v3 :: v_dual_mov_b32 v72, v116
	v_dual_mov_b32 v58, v3 :: v_dual_mov_b32 v47, v40
	v_sub_nc_u32_e32 v44, v44, v147
	s_delay_alu instid0(VALU_DEP_2) | instskip(NEXT) | instid1(VALU_DEP_4)
	v_add_co_u32 v128, vcc_lo, v128, v47
	v_add_co_ci_u32_e32 v129, vcc_lo, v129, v72, vcc_lo
	v_add_co_u32 v130, vcc_lo, v130, v47
	v_add_co_ci_u32_e32 v131, vcc_lo, v131, v72, vcc_lo
	v_cmp_gt_i32_e32 vcc_lo, 1, v44
	s_waitcnt vmcnt(6)
	v_add_co_u32 v36, s13, v36, v48
	s_delay_alu instid0(VALU_DEP_1) | instskip(SKIP_1) | instid1(VALU_DEP_1)
	v_add_co_ci_u32_e64 v37, s13, v37, v49, s13
	v_add_co_u32 v38, s13, v38, v50
	v_add_co_ci_u32_e64 v39, s13, v39, v51, s13
	s_waitcnt vmcnt(4)
	v_add_co_u32 v24, s13, v32, v24
	s_delay_alu instid0(VALU_DEP_1) | instskip(SKIP_1) | instid1(VALU_DEP_1)
	v_add_co_ci_u32_e64 v25, s13, v33, v25, s13
	v_add_co_u32 v26, s13, v34, v26
	v_add_co_ci_u32_e64 v27, s13, v35, v27, s13
	;; [unrolled: 6-line block ×3, first 2 shown]
	s_waitcnt vmcnt(0)
	v_add_co_u32 v8, s13, v12, v8
	s_delay_alu instid0(VALU_DEP_1)
	v_add_co_ci_u32_e64 v9, s13, v13, v9, s13
	v_add_co_u32 v10, s13, v14, v10
	v_sub_co_u32 v13, s15, 0, v38
	v_sub_co_u32 v21, s17, 0, v26
	v_add_co_ci_u32_e64 v11, s13, v15, v11, s13
	v_sub_co_ci_u32_e64 v14, s15, 0, v39, s15
	v_sub_co_ci_u32_e64 v22, s17, 0, v27, s17
	v_cmp_gt_i64_e64 s13, 0, v[36:37]
	v_cmp_gt_i64_e64 s15, 0, v[24:25]
	;; [unrolled: 1-line block ×3, first 2 shown]
	v_sub_co_u32 v15, s16, 0, v24
	v_sub_co_u32 v23, s18, 0, v16
	;; [unrolled: 1-line block ×3, first 2 shown]
	v_sub_co_ci_u32_e64 v20, s16, 0, v25, s16
	v_sub_co_ci_u32_e64 v32, s18, 0, v17, s18
	s_and_b32 s13, s34, s13
	s_and_b32 s15, s34, s15
	;; [unrolled: 1-line block ×3, first 2 shown]
	v_cndmask_b32_e64 v20, v25, v20, s15
	v_cndmask_b32_e64 v25, v17, v32, s17
	;; [unrolled: 1-line block ×3, first 2 shown]
	v_sub_co_u32 v33, s19, 0, v18
	v_sub_co_ci_u32_e64 v12, s14, 0, v37, s14
	v_sub_co_ci_u32_e64 v34, s19, 0, v19, s19
	v_cmp_gt_i64_e64 s16, 0, v[26:27]
	v_cmp_gt_i64_e64 s18, 0, v[18:19]
	;; [unrolled: 1-line block ×3, first 2 shown]
	v_mul_hi_u32 v2, v17, v117
	v_sub_co_u32 v35, s20, 0, v8
	s_delay_alu instid0(VALU_DEP_1)
	v_sub_co_ci_u32_e64 v48, s20, 0, v9, s20
	v_cndmask_b32_e64 v37, v37, v12, s13
	s_and_b32 s16, s34, s16
	s_and_b32 s18, s34, s18
	;; [unrolled: 1-line block ×3, first 2 shown]
	v_cmp_gt_i64_e64 s14, 0, v[38:39]
	v_cndmask_b32_e64 v32, v9, v48, s19
	v_cndmask_b32_e64 v21, v26, v21, s16
	;; [unrolled: 1-line block ×4, first 2 shown]
	v_mad_u64_u32 v[8:9], null, v37, v117, v[2:3]
	s_and_b32 s14, s34, s14
	v_mov_b32_e32 v57, v3
	v_cndmask_b32_e64 v22, v27, v22, s16
	v_cndmask_b32_e64 v27, v19, v34, s18
	;; [unrolled: 1-line block ×3, first 2 shown]
	v_dual_mov_b32 v59, v3 :: v_dual_mov_b32 v134, v9
	v_mov_b32_e32 v2, v8
	v_cmp_gt_i64_e64 s20, 0, v[10:11]
	v_cndmask_b32_e64 v39, v39, v14, s14
	v_sub_co_u32 v49, s21, 0, v10
	s_delay_alu instid0(VALU_DEP_4)
	v_mad_u64_u32 v[8:9], null, v17, v46, v[2:3]
	v_mul_hi_u32 v2, v19, v117
	v_sub_co_ci_u32_e64 v50, s21, 0, v11, s21
	v_mov_b32_e32 v61, v3
	s_and_b32 s20, s34, s20
	v_cndmask_b32_e64 v24, v24, v15, s15
	v_mov_b32_e32 v12, v9
	v_cndmask_b32_e64 v34, v11, v50, s20
	v_mad_u64_u32 v[8:9], null, v39, v117, v[2:3]
	v_cndmask_b32_e64 v35, v10, v49, s20
	v_mad_u64_u32 v[10:11], null, v37, v46, v[134:135]
	v_mov_b32_e32 v63, v3
	v_cndmask_b32_e64 v23, v16, v23, s17
	s_or_b32 s24, vcc_lo, s24
	v_mov_b32_e32 v2, v8
	s_delay_alu instid0(VALU_DEP_4) | instskip(NEXT) | instid1(VALU_DEP_1)
	v_add_co_u32 v16, s21, v10, v12
	v_add_co_ci_u32_e64 v18, s21, 0, v11, s21
	s_delay_alu instid0(VALU_DEP_3) | instskip(SKIP_1) | instid1(VALU_DEP_2)
	v_mad_u64_u32 v[10:11], null, v19, v46, v[2:3]
	v_mul_hi_u32 v2, v24, v117
	v_mov_b32_e32 v36, v11
	s_delay_alu instid0(VALU_DEP_2) | instskip(SKIP_2) | instid1(VALU_DEP_2)
	v_mad_u64_u32 v[10:11], null, v20, v117, v[2:3]
	v_mov_b32_e32 v56, v9
	v_mad_u64_u32 v[8:9], null, v16, s22, 0
	v_mad_u64_u32 v[12:13], null, v39, v46, v[56:57]
	s_delay_alu instid0(VALU_DEP_4) | instskip(NEXT) | instid1(VALU_DEP_3)
	v_dual_mov_b32 v57, v11 :: v_dual_mov_b32 v2, v10
	v_mad_u64_u32 v[14:15], null, v18, s22, v[9:10]
	s_delay_alu instid0(VALU_DEP_3) | instskip(NEXT) | instid1(VALU_DEP_1)
	v_add_co_u32 v36, s21, v12, v36
	v_add_co_ci_u32_e64 v38, s21, 0, v13, s21
	s_delay_alu instid0(VALU_DEP_3) | instskip(SKIP_2) | instid1(VALU_DEP_3)
	v_mov_b32_e32 v48, v14
	v_sub_co_u32 v11, s21, v17, v8
	v_mad_u64_u32 v[12:13], null, v24, v46, v[2:3]
	v_sub_co_ci_u32_e64 v12, s21, v37, v48, s21
	v_mad_u64_u32 v[9:10], null, v36, s22, 0
	v_mul_hi_u32 v2, v21, v117
	s_delay_alu instid0(VALU_DEP_3) | instskip(SKIP_3) | instid1(VALU_DEP_4)
	v_cmp_le_u64_e64 s21, s[22:23], v[11:12]
	v_mad_u64_u32 v[14:15], null, v20, v46, v[57:58]
	v_dual_mov_b32 v60, v3 :: v_dual_mov_b32 v37, v13
	v_mov_b32_e32 v8, v10
	v_cndmask_b32_e64 v17, 0, 1, s21
	v_mad_u64_u32 v[10:11], null, v22, v117, v[2:3]
	s_delay_alu instid0(VALU_DEP_3) | instskip(NEXT) | instid1(VALU_DEP_3)
	v_mad_u64_u32 v[12:13], null, v38, s22, v[8:9]
	v_add_co_u32 v8, s21, v16, v17
	s_delay_alu instid0(VALU_DEP_1) | instskip(SKIP_1) | instid1(VALU_DEP_1)
	v_add_co_ci_u32_e64 v17, s21, 0, v18, s21
	v_add_co_u32 v37, s21, v14, v37
	v_add_co_ci_u32_e64 v48, s21, 0, v15, s21
	v_mov_b32_e32 v2, v10
	v_sub_co_u32 v18, s21, 0, v8
	s_delay_alu instid0(VALU_DEP_1)
	v_sub_co_ci_u32_e64 v49, s21, 0, v17, s21
	v_mov_b32_e32 v50, v12
	v_sub_co_u32 v12, s21, v19, v9
	v_mad_u64_u32 v[13:14], null, v21, v46, v[2:3]
	v_mul_hi_u32 v2, v23, v117
	v_cndmask_b32_e64 v9, v17, v49, s13
	v_cndmask_b32_e64 v8, v8, v18, s13
	v_sub_co_ci_u32_e64 v13, s13, v39, v50, s21
	v_mov_b32_e32 v58, v11
	v_mad_u64_u32 v[10:11], null, v37, s22, 0
	s_delay_alu instid0(VALU_DEP_3) | instskip(SKIP_1) | instid1(VALU_DEP_4)
	v_cmp_le_u64_e64 s13, s[22:23], v[12:13]
	v_mad_u64_u32 v[12:13], null, v25, v117, v[2:3]
	v_mad_u64_u32 v[15:16], null, v22, v46, v[58:59]
	v_mov_b32_e32 v62, v3
	s_delay_alu instid0(VALU_DEP_4) | instskip(NEXT) | instid1(VALU_DEP_4)
	v_cndmask_b32_e64 v19, 0, 1, s13
	v_mov_b32_e32 v59, v13
	v_mad_u64_u32 v[17:18], null, v48, s22, v[11:12]
	s_delay_alu instid0(VALU_DEP_3) | instskip(NEXT) | instid1(VALU_DEP_1)
	v_add_co_u32 v19, s13, v36, v19
	v_add_co_ci_u32_e64 v11, s13, 0, v38, s13
	v_add_co_u32 v36, s13, v15, v14
	v_mov_b32_e32 v2, v12
	v_add_co_ci_u32_e64 v38, s13, 0, v16, s13
	v_sub_co_u32 v39, s13, 0, v19
	v_mov_b32_e32 v50, v17
	v_sub_co_ci_u32_e64 v49, s13, 0, v11, s13
	v_sub_co_u32 v14, s13, v24, v10
	v_mad_u64_u32 v[15:16], null, v23, v46, v[2:3]
	v_mul_hi_u32 v2, v26, v117
	v_sub_co_ci_u32_e64 v15, s13, v20, v50, s13
	v_mad_u64_u32 v[12:13], null, v36, s22, 0
	v_mad_u64_u32 v[17:18], null, v25, v46, v[59:60]
	s_delay_alu instid0(VALU_DEP_3) | instskip(SKIP_3) | instid1(VALU_DEP_4)
	v_cmp_le_u64_e64 s13, s[22:23], v[14:15]
	v_mad_u64_u32 v[14:15], null, v27, v117, v[2:3]
	v_cndmask_b32_e64 v10, v19, v39, s14
	v_cndmask_b32_e64 v11, v11, v49, s14
	;; [unrolled: 1-line block ×3, first 2 shown]
	s_delay_alu instid0(VALU_DEP_4) | instskip(NEXT) | instid1(VALU_DEP_2)
	v_mad_u64_u32 v[19:20], null, v38, s22, v[13:14]
	v_add_co_u32 v24, s13, v37, v24
	s_delay_alu instid0(VALU_DEP_1)
	v_add_co_ci_u32_e64 v13, s13, 0, v48, s13
	v_add_co_u32 v37, s13, v17, v16
	v_mov_b32_e32 v2, v14
	v_add_co_ci_u32_e64 v39, s13, 0, v18, s13
	v_sub_co_u32 v48, s13, 0, v24
	v_mov_b32_e32 v50, v19
	v_sub_co_ci_u32_e64 v49, s13, 0, v13, s13
	v_sub_co_u32 v16, s13, v21, v12
	v_mad_u64_u32 v[17:18], null, v26, v46, v[2:3]
	v_mul_hi_u32 v2, v33, v117
	v_sub_co_ci_u32_e64 v17, s13, v22, v50, s13
	v_mov_b32_e32 v60, v15
	v_mad_u64_u32 v[14:15], null, v37, s22, 0
	s_delay_alu instid0(VALU_DEP_3) | instskip(SKIP_3) | instid1(VALU_DEP_4)
	v_cmp_le_u64_e64 s13, s[22:23], v[16:17]
	v_cndmask_b32_e64 v12, v24, v48, s15
	v_mad_u64_u32 v[16:17], null, v32, v117, v[2:3]
	v_mad_u64_u32 v[19:20], null, v27, v46, v[60:61]
	v_cndmask_b32_e64 v24, 0, 1, s13
	v_cndmask_b32_e64 v13, v13, v49, s15
	s_delay_alu instid0(VALU_DEP_4) | instskip(NEXT) | instid1(VALU_DEP_3)
	v_mad_u64_u32 v[21:22], null, v39, s22, v[15:16]
	v_add_co_u32 v24, s13, v36, v24
	s_delay_alu instid0(VALU_DEP_1)
	v_add_co_ci_u32_e64 v15, s13, 0, v38, s13
	v_add_co_u32 v36, s13, v19, v18
	v_mov_b32_e32 v2, v16
	v_add_co_ci_u32_e64 v38, s13, 0, v20, s13
	v_sub_co_u32 v48, s13, 0, v24
	v_mov_b32_e32 v50, v21
	v_sub_co_ci_u32_e64 v49, s13, 0, v15, s13
	v_sub_co_u32 v18, s13, v23, v14
	v_mad_u64_u32 v[19:20], null, v33, v46, v[2:3]
	v_mul_hi_u32 v2, v35, v117
	v_sub_co_ci_u32_e64 v19, s13, v25, v50, s13
	v_mov_b32_e32 v61, v17
	v_mad_u64_u32 v[16:17], null, v36, s22, 0
	s_delay_alu instid0(VALU_DEP_3) | instskip(SKIP_3) | instid1(VALU_DEP_4)
	v_cmp_le_u64_e64 s13, s[22:23], v[18:19]
	v_cndmask_b32_e64 v14, v24, v48, s16
	v_mad_u64_u32 v[18:19], null, v34, v117, v[2:3]
	v_mad_u64_u32 v[21:22], null, v32, v46, v[61:62]
	v_cndmask_b32_e64 v25, 0, 1, s13
	v_cndmask_b32_e64 v15, v15, v49, s16
	global_store_b128 v[118:119], v[8:11], off glc slc dlc
	v_mad_u64_u32 v[23:24], null, v38, s22, v[17:18]
	global_store_b128 v[118:119], v[12:15], off offset:512 glc slc dlc
	v_add_co_u32 v25, s13, v37, v25
	s_delay_alu instid0(VALU_DEP_1) | instskip(SKIP_1) | instid1(VALU_DEP_1)
	v_add_co_ci_u32_e64 v17, s13, 0, v39, s13
	v_add_co_u32 v37, s13, v21, v20
	v_add_co_ci_u32_e64 v39, s13, 0, v22, s13
	v_mov_b32_e32 v2, v18
	v_sub_co_u32 v48, s13, 0, v25
	v_mov_b32_e32 v50, v23
	v_sub_co_ci_u32_e64 v49, s13, 0, v17, s13
	v_sub_co_u32 v20, s13, v26, v16
	v_mad_u64_u32 v[21:22], null, v35, v46, v[2:3]
	s_delay_alu instid0(VALU_DEP_4) | instskip(SKIP_2) | instid1(VALU_DEP_3)
	v_sub_co_ci_u32_e64 v21, s13, v27, v50, s13
	v_mov_b32_e32 v62, v19
	v_mad_u64_u32 v[18:19], null, v37, s22, 0
	v_cmp_le_u64_e64 s13, s[22:23], v[20:21]
	v_cndmask_b32_e64 v16, v25, v48, s17
	s_delay_alu instid0(VALU_DEP_4) | instskip(SKIP_3) | instid1(VALU_DEP_2)
	v_mad_u64_u32 v[23:24], null, v34, v46, v[62:63]
	v_cndmask_b32_e64 v17, v17, v49, s17
	v_mov_b32_e32 v2, v19
	v_cndmask_b32_e64 v21, 0, 1, s13
	v_mad_u64_u32 v[19:20], null, v39, s22, v[2:3]
	s_delay_alu instid0(VALU_DEP_2) | instskip(NEXT) | instid1(VALU_DEP_1)
	v_add_co_u32 v2, s13, v36, v21
	v_add_co_ci_u32_e64 v25, s13, 0, v38, s13
	v_add_co_u32 v26, s13, v23, v22
	s_delay_alu instid0(VALU_DEP_1) | instskip(NEXT) | instid1(VALU_DEP_4)
	v_add_co_ci_u32_e64 v24, s13, 0, v24, s13
	v_sub_co_u32 v23, s13, 0, v2
	v_mov_b32_e32 v36, v19
	v_sub_co_ci_u32_e64 v27, s13, 0, v25, s13
	v_sub_co_u32 v22, s13, v33, v18
	s_delay_alu instid0(VALU_DEP_4) | instskip(NEXT) | instid1(VALU_DEP_4)
	v_cndmask_b32_e64 v18, v2, v23, s18
	v_sub_co_ci_u32_e64 v23, s13, v32, v36, s13
	v_mad_u64_u32 v[20:21], null, v26, s22, 0
	v_cndmask_b32_e64 v19, v25, v27, s18
	s_delay_alu instid0(VALU_DEP_3) | instskip(NEXT) | instid1(VALU_DEP_3)
	v_cmp_le_u64_e64 s13, s[22:23], v[22:23]
	v_mov_b32_e32 v2, v21
	s_delay_alu instid0(VALU_DEP_2) | instskip(NEXT) | instid1(VALU_DEP_2)
	v_cndmask_b32_e64 v23, 0, 1, s13
	v_mad_u64_u32 v[21:22], null, v24, s22, v[2:3]
	s_delay_alu instid0(VALU_DEP_2) | instskip(NEXT) | instid1(VALU_DEP_1)
	v_add_co_u32 v2, s13, v37, v23
	v_add_co_ci_u32_e64 v23, s13, 0, v39, s13
	s_delay_alu instid0(VALU_DEP_2) | instskip(NEXT) | instid1(VALU_DEP_1)
	v_sub_co_u32 v25, s13, 0, v2
	v_sub_co_ci_u32_e64 v27, s13, 0, v23, s13
	v_mov_b32_e32 v32, v21
	v_sub_co_u32 v22, s13, v35, v20
	s_delay_alu instid0(VALU_DEP_3) | instskip(SKIP_1) | instid1(VALU_DEP_4)
	v_cndmask_b32_e64 v21, v23, v27, s19
	v_cndmask_b32_e64 v20, v2, v25, s19
	v_sub_co_ci_u32_e64 v23, s13, v34, v32, s13
	s_delay_alu instid0(VALU_DEP_1) | instskip(NEXT) | instid1(VALU_DEP_1)
	v_cmp_le_u64_e64 s13, s[22:23], v[22:23]
	v_cndmask_b32_e64 v2, 0, 1, s13
	s_delay_alu instid0(VALU_DEP_1) | instskip(NEXT) | instid1(VALU_DEP_1)
	v_add_co_u32 v2, s13, v26, v2
	v_add_co_ci_u32_e64 v22, s13, 0, v24, s13
	s_delay_alu instid0(VALU_DEP_2) | instskip(NEXT) | instid1(VALU_DEP_1)
	v_sub_co_u32 v24, s13, 0, v2
	v_sub_co_ci_u32_e64 v23, s13, 0, v22, s13
	s_delay_alu instid0(VALU_DEP_1) | instskip(NEXT) | instid1(VALU_DEP_3)
	v_cndmask_b32_e64 v23, v22, v23, s20
	v_cndmask_b32_e64 v22, v2, v24, s20
	s_clause 0x1
	global_store_b128 v[118:119], v[16:19], off offset:1024 glc slc dlc
	global_store_b128 v[118:119], v[20:23], off offset:1536 glc slc dlc
	s_clause 0x3
	global_store_b128 v[132:133], v[8:11], off glc slc dlc
	global_store_b128 v[132:133], v[12:15], off offset:512 glc slc dlc
	global_store_b128 v[132:133], v[16:19], off offset:1024 glc slc dlc
	;; [unrolled: 1-line block ×3, first 2 shown]
	v_add_co_u32 v118, s13, v118, v47
	s_delay_alu instid0(VALU_DEP_1) | instskip(SKIP_1) | instid1(VALU_DEP_1)
	v_add_co_ci_u32_e64 v119, s13, v119, v72, s13
	v_add_co_u32 v132, s13, v132, v47
	v_add_co_ci_u32_e64 v133, s13, v133, v72, s13
	s_and_not1_b32 exec_lo, exec_lo, s24
	s_cbranch_execnz .LBB6_667
; %bb.668:                              ;   in Loop: Header=BB6_569 Depth=2
	s_or_b32 exec_lo, exec_lo, s24
.LBB6_669:                              ;   in Loop: Header=BB6_569 Depth=2
	s_delay_alu instid0(SALU_CYCLE_1) | instskip(SKIP_2) | instid1(VALU_DEP_1)
	s_or_b32 exec_lo, exec_lo, s11
	v_lshlrev_b32_e32 v22, 11, v45
	s_mov_b32 s11, exec_lo
                                        ; implicit-def: $vgpr18
                                        ; implicit-def: $vgpr19
                                        ; implicit-def: $vgpr20
                                        ; implicit-def: $sgpr18_sgpr19
                                        ; implicit-def: $vgpr2
	v_cmpx_ne_u32_e64 v43, v22
	s_cbranch_execz .LBB6_685
; %bb.670:                              ;   in Loop: Header=BB6_569 Depth=2
	v_mov_b32_e32 v12, -1
	v_mov_b32_e32 v13, -1
	s_cmp_lt_i32 s22, 1
	s_cbranch_scc1 .LBB6_675
; %bb.671:                              ;   in Loop: Header=BB6_569 Depth=2
	s_cmp_lg_u32 s22, 1
	s_cbranch_scc1 .LBB6_673
; %bb.672:                              ;   in Loop: Header=BB6_569 Depth=2
	s_mov_b32 s15, s25
	s_mov_b32 s14, s23
	s_mov_b64 s[16:17], 1
	s_branch .LBB6_674
.LBB6_673:                              ;   in Loop: Header=BB6_569 Depth=2
	s_mov_b64 s[16:17], 3
	s_mov_b64 s[14:15], 0
.LBB6_674:                              ;   in Loop: Header=BB6_569 Depth=2
	v_cmp_lt_u64_e64 s2, s[16:17], s[22:23]
	s_or_b32 s4, s15, 2.0
	s_delay_alu instid0(VALU_DEP_1)
	s_and_b32 s2, s2, exec_lo
	s_cselect_b32 s2, s15, s4
	s_cselect_b32 s4, 0, s22
	s_cselect_b32 s13, 0, 0
	s_sub_u32 s16, s16, s4
	s_subb_u32 s17, s17, s13
	s_or_b32 s13, s2, 0x20000000
	s_lshl_b64 s[16:17], s[16:17], 1
	s_delay_alu instid0(SALU_CYCLE_1) | instskip(NEXT) | instid1(SALU_CYCLE_1)
	s_or_b32 s16, s16, 1
	v_cmp_lt_u64_e64 s4, s[16:17], s[22:23]
	s_delay_alu instid0(VALU_DEP_1)
	s_and_b32 s4, s4, exec_lo
	s_cselect_b32 s4, 0, s22
	s_cselect_b32 s2, s2, s13
	s_cselect_b32 s13, 0, 0
	s_sub_u32 s16, s16, s4
	s_subb_u32 s17, s17, s13
	s_or_b32 s13, s2, 0x10000000
	s_lshl_b64 s[16:17], s[16:17], 1
	s_delay_alu instid0(SALU_CYCLE_1) | instskip(NEXT) | instid1(SALU_CYCLE_1)
	s_or_b32 s16, s16, 1
	v_cmp_lt_u64_e64 s4, s[16:17], s[22:23]
	;; [unrolled: 12-line block ×30, first 2 shown]
	s_delay_alu instid0(VALU_DEP_1)
	s_and_b32 s4, s4, exec_lo
	s_cselect_b32 s4, 0, s22
	s_cselect_b32 s2, s2, s13
	;; [unrolled: 1-line block ×3, first 2 shown]
	s_sub_u32 s16, s16, s4
	s_subb_u32 s17, s17, s13
	s_or_b32 s13, s14, 0x80000000
	s_lshl_b64 s[16:17], s[16:17], 1
	v_mov_b32_e32 v13, s2
	s_or_b32 s16, s16, 1
	s_delay_alu instid0(SALU_CYCLE_1) | instskip(NEXT) | instid1(VALU_DEP_1)
	v_cmp_lt_u64_e64 s4, s[16:17], s[22:23]
	s_and_b32 s4, s4, exec_lo
	s_cselect_b32 s4, s14, s13
	s_cselect_b32 s13, 0, s22
	;; [unrolled: 1-line block ×3, first 2 shown]
	s_sub_u32 s14, s16, s13
	s_subb_u32 s15, s17, s15
	s_or_b32 s16, s4, 2.0
	s_lshl_b64 s[14:15], s[14:15], 1
	s_delay_alu instid0(SALU_CYCLE_1) | instskip(NEXT) | instid1(SALU_CYCLE_1)
	s_or_b32 s14, s14, 1
	v_cmp_lt_u64_e64 s13, s[14:15], s[22:23]
	s_delay_alu instid0(VALU_DEP_1)
	s_and_b32 s13, s13, exec_lo
	s_cselect_b32 s13, 0, s22
	s_cselect_b32 s4, s4, s16
	s_cselect_b32 s16, 0, 0
	s_sub_u32 s14, s14, s13
	s_subb_u32 s15, s15, s16
	s_or_b32 s16, s4, 0x20000000
	s_lshl_b64 s[14:15], s[14:15], 1
	s_delay_alu instid0(SALU_CYCLE_1) | instskip(NEXT) | instid1(SALU_CYCLE_1)
	s_or_b32 s14, s14, 1
	v_cmp_lt_u64_e64 s13, s[14:15], s[22:23]
	s_delay_alu instid0(VALU_DEP_1)
	s_and_b32 s13, s13, exec_lo
	s_cselect_b32 s13, 0, s22
	s_cselect_b32 s4, s4, s16
	s_cselect_b32 s16, 0, 0
	s_sub_u32 s14, s14, s13
	s_subb_u32 s15, s15, s16
	s_or_b32 s16, s4, 0x10000000
	;; [unrolled: 12-line block ×29, first 2 shown]
	s_lshl_b64 s[14:15], s[14:15], 1
	s_delay_alu instid0(SALU_CYCLE_1) | instskip(NEXT) | instid1(SALU_CYCLE_1)
	s_or_b32 s14, s14, 1
	v_cmp_lt_u64_e64 s13, s[14:15], s[22:23]
	s_delay_alu instid0(VALU_DEP_1)
	s_and_b32 s13, s13, exec_lo
	s_cselect_b32 s13, 0, s22
	s_cselect_b32 s4, s4, s16
	;; [unrolled: 1-line block ×3, first 2 shown]
	s_sub_u32 s14, s14, s13
	s_subb_u32 s15, s15, s16
	s_delay_alu instid0(SALU_CYCLE_1) | instskip(NEXT) | instid1(SALU_CYCLE_1)
	s_lshl_b64 s[14:15], s[14:15], 1
	s_or_b32 s14, s14, 1
	s_delay_alu instid0(SALU_CYCLE_1) | instskip(NEXT) | instid1(VALU_DEP_1)
	v_cmp_ge_u64_e64 s13, s[14:15], s[22:23]
	v_cndmask_b32_e64 v2, 0, 1, s13
	s_delay_alu instid0(VALU_DEP_1)
	v_or_b32_e32 v12, s4, v2
.LBB6_675:                              ;   in Loop: Header=BB6_569 Depth=2
	v_lshlrev_b32_e32 v2, 5, v44
	v_sub_nc_u32_e32 v9, v43, v22
	s_mov_b32 s2, exec_lo
	s_delay_alu instid0(VALU_DEP_2) | instskip(NEXT) | instid1(VALU_DEP_2)
	v_sub_nc_u32_e32 v2, v149, v2
	v_ashrrev_i32_e32 v10, 31, v9
	s_delay_alu instid0(VALU_DEP_2) | instskip(NEXT) | instid1(VALU_DEP_2)
	v_ashrrev_i32_e32 v8, 31, v2
	v_lshrrev_b32_e32 v10, 23, v10
	s_delay_alu instid0(VALU_DEP_2) | instskip(NEXT) | instid1(VALU_DEP_2)
	v_lshrrev_b32_e32 v8, 27, v8
	v_add_nc_u32_e32 v10, v9, v10
	s_delay_alu instid0(VALU_DEP_2) | instskip(NEXT) | instid1(VALU_DEP_2)
	v_add_nc_u32_e32 v8, v2, v8
	v_and_b32_e32 v23, 0xfffffe00, v10
	v_ashrrev_i32_e32 v10, 9, v10
	s_delay_alu instid0(VALU_DEP_3) | instskip(NEXT) | instid1(VALU_DEP_3)
	v_and_b32_e32 v11, 0xffffffe0, v8
	v_sub_nc_u32_e32 v25, v9, v23
	v_ashrrev_i32_e32 v8, 5, v8
	s_delay_alu instid0(VALU_DEP_3) | instskip(NEXT) | instid1(VALU_DEP_3)
	v_sub_nc_u32_e32 v24, v2, v11
	v_cmp_lt_i32_e64 s13, 15, v25
	s_delay_alu instid0(VALU_DEP_2) | instskip(NEXT) | instid1(VALU_DEP_2)
	v_lshlrev_b32_e32 v2, 4, v24
	v_add_co_ci_u32_e64 v10, vcc_lo, 0, v10, s13
	s_delay_alu instid0(VALU_DEP_2) | instskip(NEXT) | instid1(VALU_DEP_2)
	v_lshl_add_u32 v2, v8, 9, v2
	v_sub_nc_u32_e32 v26, v10, v8
	s_delay_alu instid0(VALU_DEP_2) | instskip(NEXT) | instid1(VALU_DEP_1)
	v_sub_nc_u32_e32 v27, v9, v2
	v_cmpx_lt_i32_e32 15, v27
	s_cbranch_execz .LBB6_682
; %bb.676:                              ;   in Loop: Header=BB6_569 Depth=2
	s_cbranch_execnz .LBB6_1854
; %bb.677:                              ;   in Loop: Header=BB6_569 Depth=2
	ds_load_b128 v[8:11], v0
	v_add_nc_u32_e32 v2, v2, v22
	s_cmp_lt_i32 s30, 0
	s_mov_b32 s4, 0
	s_cselect_b32 s16, -1, 0
	s_delay_alu instid0(VALU_DEP_1) | instskip(SKIP_2) | instid1(VALU_DEP_2)
	v_ashrrev_i32_e32 v17, 31, v2
	s_waitcnt lgkmcnt(0)
	v_add_co_u32 v14, vcc_lo, v8, v2
	v_add_co_ci_u32_e32 v15, vcc_lo, v9, v17, vcc_lo
	s_delay_alu instid0(VALU_DEP_1) | instskip(SKIP_2) | instid1(VALU_DEP_1)
	v_mov_b32_e32 v19, v15
	v_add_co_u32 v16, vcc_lo, v10, v2
	v_add_co_ci_u32_e32 v17, vcc_lo, v11, v17, vcc_lo
	v_dual_mov_b32 v18, v14 :: v_dual_mov_b32 v21, v17
	s_delay_alu instid0(VALU_DEP_3)
	v_mov_b32_e32 v20, v16
.LBB6_678:                              ;   Parent Loop BB6_55 Depth=1
                                        ;     Parent Loop BB6_569 Depth=2
                                        ; =>    This Loop Header: Depth=3
                                        ;         Child Loop BB6_679 Depth 4
	global_load_b128 v[8:11], v[18:19], off slc dlc
	global_load_b128 v[32:35], v[20:21], off slc dlc
	s_mov_b32 s17, -1
	v_mov_b32_e32 v37, v3
	s_waitcnt vmcnt(0)
	v_add_co_u32 v8, vcc_lo, v32, v8
	v_add_co_ci_u32_e32 v9, vcc_lo, v33, v9, vcc_lo
	s_delay_alu instid0(VALU_DEP_2) | instskip(NEXT) | instid1(VALU_DEP_2)
	v_sub_co_u32 v2, s14, 0, v8
	v_cmp_gt_i64_e32 vcc_lo, 0, v[8:9]
	v_sub_co_ci_u32_e64 v32, s14, 0, v9, s14
	s_and_b32 vcc_lo, s16, vcc_lo
	s_delay_alu instid0(VALU_DEP_1) | instskip(SKIP_1) | instid1(VALU_DEP_1)
	v_dual_cndmask_b32 v38, v9, v32 :: v_dual_cndmask_b32 v39, v8, v2
	v_add_co_u32 v8, s14, v34, v10
	v_add_co_ci_u32_e64 v9, s14, v35, v11, s14
	s_delay_alu instid0(VALU_DEP_3) | instskip(NEXT) | instid1(VALU_DEP_3)
	v_mul_hi_u32 v2, v39, v12
	v_sub_co_u32 v32, s15, 0, v8
	s_delay_alu instid0(VALU_DEP_3) | instskip(SKIP_1) | instid1(VALU_DEP_4)
	v_cmp_gt_i64_e64 s14, 0, v[8:9]
	v_mov_b32_e32 v35, v3
	v_mad_u64_u32 v[10:11], null, v38, v12, v[2:3]
	v_sub_co_ci_u32_e64 v2, s15, 0, v9, s15
	s_delay_alu instid0(VALU_DEP_4) | instskip(NEXT) | instid1(SALU_CYCLE_1)
	s_and_b32 s14, s16, s14
	v_cndmask_b32_e64 v49, v8, v32, s14
	s_delay_alu instid0(VALU_DEP_2) | instskip(NEXT) | instid1(VALU_DEP_4)
	v_cndmask_b32_e64 v48, v9, v2, s14
	v_mov_b32_e32 v2, v10
	v_mov_b32_e32 v34, v11
	s_delay_alu instid0(VALU_DEP_2) | instskip(SKIP_1) | instid1(VALU_DEP_1)
	v_mad_u64_u32 v[8:9], null, v39, v13, v[2:3]
	v_mul_hi_u32 v2, v49, v12
	v_mad_u64_u32 v[32:33], null, v48, v12, v[2:3]
	s_delay_alu instid0(VALU_DEP_1) | instskip(NEXT) | instid1(VALU_DEP_2)
	v_mov_b32_e32 v2, v32
	v_mov_b32_e32 v36, v33
	v_mad_u64_u32 v[32:33], null, v38, v13, v[34:35]
	s_delay_alu instid0(VALU_DEP_3) | instskip(SKIP_1) | instid1(VALU_DEP_4)
	v_mad_u64_u32 v[10:11], null, v49, v13, v[2:3]
	v_mov_b32_e32 v2, v9
	v_mad_u64_u32 v[8:9], null, v48, v13, v[36:37]
	s_delay_alu instid0(VALU_DEP_2) | instskip(NEXT) | instid1(VALU_DEP_4)
	v_add_co_u32 v35, s15, v32, v2
	v_mov_b32_e32 v10, v11
	v_add_co_ci_u32_e64 v36, s15, 0, v33, s15
	s_delay_alu instid0(VALU_DEP_2) | instskip(NEXT) | instid1(VALU_DEP_4)
	v_add_co_u32 v37, s15, v8, v10
	v_mad_u64_u32 v[10:11], null, v35, s22, 0
	v_add_co_ci_u32_e64 v50, s15, 0, v9, s15
	s_delay_alu instid0(VALU_DEP_3) | instskip(NEXT) | instid1(VALU_DEP_3)
	v_mad_u64_u32 v[8:9], null, v37, s22, 0
	v_mov_b32_e32 v2, v11
	s_delay_alu instid0(VALU_DEP_1) | instskip(NEXT) | instid1(VALU_DEP_3)
	v_mad_u64_u32 v[32:33], null, v36, s22, v[2:3]
	v_mad_u64_u32 v[33:34], null, v50, s22, v[9:10]
	v_sub_co_u32 v9, s15, v39, v10
	s_delay_alu instid0(VALU_DEP_2) | instskip(NEXT) | instid1(VALU_DEP_1)
	v_dual_mov_b32 v2, v32 :: v_dual_mov_b32 v11, v33
	v_sub_co_ci_u32_e64 v10, s15, v38, v2, s15
	v_sub_co_u32 v32, s15, v49, v8
	s_delay_alu instid0(VALU_DEP_1) | instskip(NEXT) | instid1(VALU_DEP_3)
	v_sub_co_ci_u32_e64 v33, s15, v48, v11, s15
	v_cmp_le_u64_e64 s15, s[22:23], v[9:10]
	s_delay_alu instid0(VALU_DEP_1) | instskip(NEXT) | instid1(VALU_DEP_3)
	v_cndmask_b32_e64 v2, 0, 1, s15
	v_cmp_le_u64_e64 s15, s[22:23], v[32:33]
	s_delay_alu instid0(VALU_DEP_1) | instskip(NEXT) | instid1(VALU_DEP_3)
	v_cndmask_b32_e64 v8, 0, 1, s15
	v_add_co_u32 v2, s15, v35, v2
	s_delay_alu instid0(VALU_DEP_1) | instskip(NEXT) | instid1(VALU_DEP_3)
	v_add_co_ci_u32_e64 v9, s15, 0, v36, s15
	v_add_co_u32 v10, s15, v37, v8
	s_delay_alu instid0(VALU_DEP_1) | instskip(NEXT) | instid1(VALU_DEP_4)
	v_add_co_ci_u32_e64 v11, s15, 0, v50, s15
	v_sub_co_u32 v8, s15, 0, v2
	s_delay_alu instid0(VALU_DEP_1) | instskip(NEXT) | instid1(VALU_DEP_4)
	v_sub_co_ci_u32_e64 v32, s15, 0, v9, s15
	v_sub_co_u32 v33, s15, 0, v10
	s_delay_alu instid0(VALU_DEP_1) | instskip(NEXT) | instid1(VALU_DEP_3)
	v_sub_co_ci_u32_e64 v34, s15, 0, v11, s15
	v_cndmask_b32_e32 v9, v9, v32, vcc_lo
	v_cndmask_b32_e32 v8, v2, v8, vcc_lo
	s_delay_alu instid0(VALU_DEP_4) | instskip(NEXT) | instid1(VALU_DEP_4)
	v_cndmask_b32_e64 v10, v10, v33, s14
	v_cndmask_b32_e64 v11, v11, v34, s14
	s_mov_b64 s[14:15], 0
.LBB6_679:                              ;   Parent Loop BB6_55 Depth=1
                                        ;     Parent Loop BB6_569 Depth=2
                                        ;       Parent Loop BB6_678 Depth=3
                                        ; =>      This Inner Loop Header: Depth=4
	s_delay_alu instid0(SALU_CYCLE_1)
	s_cmp_eq_u32 s14, 0
	v_cndmask_b32_e64 v2, 0, 1, s17
	s_cselect_b32 vcc_lo, -1, 0
	s_cmp_eq_u32 s14, 1
	s_mov_b32 s17, 0
	s_cselect_b32 s14, -1, 0
	s_delay_alu instid0(SALU_CYCLE_1) | instskip(SKIP_1) | instid1(VALU_DEP_2)
	v_cndmask_b32_e64 v32, v14, v16, s14
	v_cndmask_b32_e64 v33, v15, v17, s14
	v_add_co_u32 v34, s15, 0x200, v32
	s_delay_alu instid0(VALU_DEP_1) | instskip(SKIP_1) | instid1(VALU_DEP_3)
	v_add_co_ci_u32_e64 v35, s15, 0, v33, s15
	v_cmp_ne_u32_e64 s15, 1, v2
	v_cndmask_b32_e64 v16, v16, v34, s14
	v_cndmask_b32_e32 v14, v14, v34, vcc_lo
	s_delay_alu instid0(VALU_DEP_4)
	v_cndmask_b32_e64 v17, v17, v35, s14
	v_cndmask_b32_e32 v15, v15, v35, vcc_lo
	s_and_b32 vcc_lo, exec_lo, s15
	s_mov_b64 s[14:15], 1
	global_store_b128 v[32:33], v[8:11], off glc slc dlc
	s_cbranch_vccz .LBB6_679
; %bb.680:                              ;   in Loop: Header=BB6_678 Depth=3
	v_add_co_u32 v18, vcc_lo, v18, v166
	v_add_co_ci_u32_e32 v19, vcc_lo, v19, v167, vcc_lo
	v_add_co_u32 v20, vcc_lo, v20, v166
	v_sub_nc_u32_e32 v27, v27, v151
	v_add_co_ci_u32_e32 v21, vcc_lo, v21, v167, vcc_lo
	v_add_co_u32 v14, vcc_lo, v14, v161
	v_add_co_ci_u32_e32 v15, vcc_lo, v15, v164, vcc_lo
	s_delay_alu instid0(VALU_DEP_4) | instskip(SKIP_1) | instid1(VALU_DEP_1)
	v_cmp_gt_i32_e32 vcc_lo, 16, v27
	v_add_co_u32 v16, s14, v16, v161
	v_add_co_ci_u32_e64 v17, s14, v17, v164, s14
	v_sub_nc_u32_e32 v26, v26, v147
	s_or_b32 s4, vcc_lo, s4
	s_delay_alu instid0(SALU_CYCLE_1)
	s_and_not1_b32 exec_lo, exec_lo, s4
	s_cbranch_execnz .LBB6_678
; %bb.681:                              ;   in Loop: Header=BB6_569 Depth=2
	s_or_b32 exec_lo, exec_lo, s4
.LBB6_682:                              ;   in Loop: Header=BB6_569 Depth=2
	s_delay_alu instid0(SALU_CYCLE_1) | instskip(SKIP_3) | instid1(VALU_DEP_1)
	s_or_b32 exec_lo, exec_lo, s2
	v_and_b32_e32 v8, 8, v43
	s_mov_b32 s2, s31
	s_mov_b32 s4, exec_lo
                                        ; implicit-def: $vgpr19
                                        ; implicit-def: $vgpr20
                                        ; implicit-def: $vgpr2
	v_cndmask_b32_e64 v18, v25, v8, s13
	s_delay_alu instid0(VALU_DEP_1)
	v_cmpx_ne_u32_e32 0, v18
	s_cbranch_execz .LBB6_684
; %bb.683:                              ;   in Loop: Header=BB6_569 Depth=2
	v_cmp_lt_i32_e32 vcc_lo, 0, v26
	v_sub_nc_u32_e32 v8, v25, v8
	s_or_b32 s2, s31, exec_lo
	v_cndmask_b32_e32 v2, 0, v147, vcc_lo
	s_delay_alu instid0(VALU_DEP_2) | instskip(NEXT) | instid1(VALU_DEP_2)
	v_cndmask_b32_e64 v8, 0, v8, s13
	v_sub_nc_u32_e32 v2, v2, v26
	s_delay_alu instid0(VALU_DEP_2) | instskip(NEXT) | instid1(VALU_DEP_2)
	v_add3_u32 v19, v23, v22, v8
	v_lshl_add_u32 v9, v2, 5, v24
	s_delay_alu instid0(VALU_DEP_1) | instskip(NEXT) | instid1(VALU_DEP_1)
	v_ashrrev_i32_e32 v2, 31, v9
	v_lshrrev_b32_e32 v2, 27, v2
	s_delay_alu instid0(VALU_DEP_1) | instskip(NEXT) | instid1(VALU_DEP_1)
	v_add_nc_u32_e32 v2, v9, v2
	v_and_b32_e32 v10, 0xffffffe0, v2
	v_ashrrev_i32_e32 v2, 5, v2
	s_delay_alu instid0(VALU_DEP_2)
	v_sub_nc_u32_e32 v20, v9, v10
.LBB6_684:                              ;   in Loop: Header=BB6_569 Depth=2
	s_or_b32 exec_lo, exec_lo, s4
	s_delay_alu instid0(SALU_CYCLE_1)
	s_and_not1_b32 s4, s31, exec_lo
	s_and_b32 s2, s2, exec_lo
	s_mov_b64 s[18:19], s[22:23]
	s_or_b32 s31, s4, s2
.LBB6_685:                              ;   in Loop: Header=BB6_569 Depth=2
	s_or_b32 exec_lo, exec_lo, s11
.LBB6_686:                              ;   in Loop: Header=BB6_569 Depth=2
	s_and_saveexec_b32 s20, s31
	s_cbranch_execz .LBB6_710
; %bb.687:                              ;   in Loop: Header=BB6_569 Depth=2
	v_mov_b32_e32 v8, -1
	v_mov_b32_e32 v9, -1
	s_cmp_lt_i32 s22, 1
	s_cbranch_scc1 .LBB6_692
; %bb.688:                              ;   in Loop: Header=BB6_569 Depth=2
	s_cmp_lg_u32 s22, 1
	s_cbranch_scc1 .LBB6_690
; %bb.689:                              ;   in Loop: Header=BB6_569 Depth=2
	s_mov_b32 s15, s25
	s_mov_b32 s14, s23
	s_mov_b64 s[16:17], 1
	s_branch .LBB6_691
.LBB6_690:                              ;   in Loop: Header=BB6_569 Depth=2
	s_mov_b64 s[16:17], 3
	s_mov_b64 s[14:15], 0
.LBB6_691:                              ;   in Loop: Header=BB6_569 Depth=2
	v_cmp_lt_u64_e64 s2, s[16:17], s[18:19]
	s_or_b32 s4, s15, 2.0
	s_delay_alu instid0(VALU_DEP_1)
	s_and_b32 s2, s2, exec_lo
	s_cselect_b32 s2, s15, s4
	s_cselect_b32 s4, 0, s18
	s_cselect_b32 s11, 0, s19
	s_sub_u32 s16, s16, s4
	s_subb_u32 s17, s17, s11
	s_or_b32 s11, s2, 0x20000000
	s_lshl_b64 s[16:17], s[16:17], 1
	s_delay_alu instid0(SALU_CYCLE_1) | instskip(NEXT) | instid1(SALU_CYCLE_1)
	s_or_b32 s16, s16, 1
	v_cmp_lt_u64_e64 s4, s[16:17], s[18:19]
	s_delay_alu instid0(VALU_DEP_1)
	s_and_b32 s4, s4, exec_lo
	s_cselect_b32 s4, 0, s18
	s_cselect_b32 s2, s2, s11
	s_cselect_b32 s11, 0, s19
	s_sub_u32 s16, s16, s4
	s_subb_u32 s17, s17, s11
	s_or_b32 s11, s2, 0x10000000
	s_lshl_b64 s[16:17], s[16:17], 1
	s_delay_alu instid0(SALU_CYCLE_1) | instskip(NEXT) | instid1(SALU_CYCLE_1)
	s_or_b32 s16, s16, 1
	v_cmp_lt_u64_e64 s4, s[16:17], s[18:19]
	;; [unrolled: 12-line block ×30, first 2 shown]
	s_delay_alu instid0(VALU_DEP_1)
	s_and_b32 s4, s4, exec_lo
	s_cselect_b32 s4, 0, s18
	s_cselect_b32 s2, s2, s11
	;; [unrolled: 1-line block ×3, first 2 shown]
	s_sub_u32 s16, s16, s4
	s_subb_u32 s17, s17, s11
	s_or_b32 s11, s14, 0x80000000
	s_lshl_b64 s[16:17], s[16:17], 1
	v_mov_b32_e32 v9, s2
	s_or_b32 s16, s16, 1
	s_delay_alu instid0(SALU_CYCLE_1) | instskip(NEXT) | instid1(VALU_DEP_1)
	v_cmp_lt_u64_e64 s4, s[16:17], s[18:19]
	s_and_b32 s4, s4, exec_lo
	s_cselect_b32 s4, s14, s11
	s_cselect_b32 s11, 0, s18
	;; [unrolled: 1-line block ×3, first 2 shown]
	s_sub_u32 s14, s16, s11
	s_subb_u32 s15, s17, s13
	s_or_b32 s13, s4, 2.0
	s_lshl_b64 s[14:15], s[14:15], 1
	s_delay_alu instid0(SALU_CYCLE_1) | instskip(NEXT) | instid1(SALU_CYCLE_1)
	s_or_b32 s14, s14, 1
	v_cmp_lt_u64_e64 s11, s[14:15], s[18:19]
	s_delay_alu instid0(VALU_DEP_1)
	s_and_b32 s11, s11, exec_lo
	s_cselect_b32 s11, 0, s18
	s_cselect_b32 s4, s4, s13
	s_cselect_b32 s13, 0, s19
	s_sub_u32 s14, s14, s11
	s_subb_u32 s15, s15, s13
	s_or_b32 s13, s4, 0x20000000
	s_lshl_b64 s[14:15], s[14:15], 1
	s_delay_alu instid0(SALU_CYCLE_1) | instskip(NEXT) | instid1(SALU_CYCLE_1)
	s_or_b32 s14, s14, 1
	v_cmp_lt_u64_e64 s11, s[14:15], s[18:19]
	s_delay_alu instid0(VALU_DEP_1)
	s_and_b32 s11, s11, exec_lo
	s_cselect_b32 s11, 0, s18
	s_cselect_b32 s4, s4, s13
	s_cselect_b32 s13, 0, s19
	s_sub_u32 s14, s14, s11
	s_subb_u32 s15, s15, s13
	s_or_b32 s13, s4, 0x10000000
	;; [unrolled: 12-line block ×29, first 2 shown]
	s_lshl_b64 s[14:15], s[14:15], 1
	s_delay_alu instid0(SALU_CYCLE_1) | instskip(NEXT) | instid1(SALU_CYCLE_1)
	s_or_b32 s14, s14, 1
	v_cmp_lt_u64_e64 s11, s[14:15], s[18:19]
	s_delay_alu instid0(VALU_DEP_1)
	s_and_b32 s11, s11, exec_lo
	s_cselect_b32 s11, 0, s18
	s_cselect_b32 s4, s4, s13
	;; [unrolled: 1-line block ×3, first 2 shown]
	s_sub_u32 s14, s14, s11
	s_subb_u32 s15, s15, s13
	s_delay_alu instid0(SALU_CYCLE_1) | instskip(NEXT) | instid1(SALU_CYCLE_1)
	s_lshl_b64 s[14:15], s[14:15], 1
	s_or_b32 s14, s14, 1
	s_delay_alu instid0(SALU_CYCLE_1) | instskip(NEXT) | instid1(VALU_DEP_1)
	v_cmp_ge_u64_e64 s11, s[14:15], s[18:19]
	v_cndmask_b32_e64 v8, 0, 1, s11
	s_delay_alu instid0(VALU_DEP_1)
	v_or_b32_e32 v8, s4, v8
.LBB6_692:                              ;   in Loop: Header=BB6_569 Depth=2
	v_ashrrev_i32_e32 v10, 31, v18
	s_mov_b32 s2, exec_lo
	s_delay_alu instid0(VALU_DEP_1) | instskip(NEXT) | instid1(VALU_DEP_1)
	v_lshrrev_b32_e32 v10, 22, v10
	v_add_nc_u32_e32 v10, v18, v10
	s_delay_alu instid0(VALU_DEP_1) | instskip(NEXT) | instid1(VALU_DEP_1)
	v_ashrrev_i32_e32 v22, 10, v10
	v_sub_nc_u32_e32 v21, v22, v2
	s_delay_alu instid0(VALU_DEP_1)
	v_cmpx_lt_i32_e32 0, v21
	s_cbranch_execz .LBB6_697
; %bb.693:                              ;   in Loop: Header=BB6_569 Depth=2
	s_cbranch_execnz .LBB6_1806
; %bb.694:                              ;   in Loop: Header=BB6_569 Depth=2
	ds_load_b128 v[10:13], v0
	v_lshlrev_b32_e32 v2, 10, v2
	v_lshlrev_b32_e32 v14, 3, v20
	s_cmp_lt_i32 s30, 0
	s_mov_b32 s4, 0
	s_cselect_b32 s11, -1, 0
	s_delay_alu instid0(VALU_DEP_1) | instskip(NEXT) | instid1(VALU_DEP_1)
	v_add3_u32 v2, v19, v14, v2
	v_ashrrev_i32_e32 v14, 31, v2
	s_waitcnt lgkmcnt(0)
	v_add_co_u32 v10, vcc_lo, v10, v2
	s_delay_alu instid0(VALU_DEP_2) | instskip(SKIP_2) | instid1(VALU_DEP_3)
	v_add_co_ci_u32_e32 v11, vcc_lo, v11, v14, vcc_lo
	v_add_co_u32 v12, vcc_lo, v12, v2
	v_add_co_ci_u32_e32 v13, vcc_lo, v13, v14, vcc_lo
	v_dual_mov_b32 v15, v11 :: v_dual_mov_b32 v14, v10
	s_delay_alu instid0(VALU_DEP_2)
	v_dual_mov_b32 v17, v13 :: v_dual_mov_b32 v16, v12
.LBB6_695:                              ;   Parent Loop BB6_55 Depth=1
                                        ;     Parent Loop BB6_569 Depth=2
                                        ; =>    This Inner Loop Header: Depth=3
	flat_load_b64 v[23:24], v[12:13] slc dlc
	s_clause 0x1
	flat_load_b64 v[25:26], v[10:11] slc dlc
	flat_load_b64 v[32:33], v[10:11] offset:256 slc dlc
	s_clause 0x1
	flat_load_b64 v[34:35], v[12:13] offset:256 slc dlc
	flat_load_b64 v[36:37], v[12:13] offset:512 slc dlc
	s_clause 0x1
	flat_load_b64 v[38:39], v[10:11] offset:512 slc dlc
	flat_load_b64 v[48:49], v[10:11] offset:768 slc dlc
	;; [unrolled: 1-line block ×3, first 2 shown]
	v_add_co_u32 v10, vcc_lo, v10, v177
	v_sub_nc_u32_e32 v21, v21, v147
	v_add_co_ci_u32_e32 v11, vcc_lo, v11, v178, vcc_lo
	v_add_co_u32 v12, vcc_lo, v12, v177
	v_add_co_ci_u32_e32 v13, vcc_lo, v13, v178, vcc_lo
	s_delay_alu instid0(VALU_DEP_4) | instskip(SKIP_2) | instid1(VALU_DEP_1)
	v_cmp_gt_i32_e32 vcc_lo, 1, v21
	s_waitcnt vmcnt(6) lgkmcnt(6)
	v_add_co_u32 v23, s13, v23, v25
	v_add_co_ci_u32_e64 v24, s13, v24, v26, s13
	s_waitcnt vmcnt(4) lgkmcnt(4)
	v_add_co_u32 v25, s13, v34, v32
	s_delay_alu instid0(VALU_DEP_1) | instskip(SKIP_2) | instid1(VALU_DEP_1)
	v_add_co_ci_u32_e64 v26, s13, v35, v33, s13
	s_waitcnt vmcnt(2) lgkmcnt(2)
	v_add_co_u32 v32, s13, v36, v38
	v_add_co_ci_u32_e64 v33, s13, v37, v39, s13
	s_waitcnt vmcnt(0) lgkmcnt(0)
	v_add_co_u32 v34, s13, v50, v48
	s_delay_alu instid0(VALU_DEP_1) | instskip(SKIP_1) | instid1(VALU_DEP_1)
	v_add_co_ci_u32_e64 v35, s13, v51, v49, s13
	v_sub_co_u32 v39, s16, 0, v32
	v_sub_co_ci_u32_e64 v48, s16, 0, v33, s16
	v_cmp_gt_i64_e64 s13, 0, v[23:24]
	s_delay_alu instid0(VALU_DEP_4) | instskip(SKIP_4) | instid1(VALU_DEP_4)
	v_cmp_gt_i64_e64 s16, 0, v[34:35]
	v_sub_co_u32 v49, s17, 0, v34
	v_sub_co_u32 v2, s14, 0, v23
	v_sub_co_ci_u32_e64 v50, s17, 0, v35, s17
	s_and_b32 s13, s11, s13
	s_and_b32 s16, s11, s16
	v_sub_co_ci_u32_e64 v36, s14, 0, v24, s14
	s_delay_alu instid0(VALU_DEP_2) | instskip(SKIP_2) | instid1(VALU_DEP_4)
	v_cndmask_b32_e64 v50, v35, v50, s16
	v_cndmask_b32_e64 v35, v23, v2, s13
	v_cmp_gt_i64_e64 s14, 0, v[25:26]
	v_cndmask_b32_e64 v36, v24, v36, s13
	v_sub_co_u32 v37, s15, 0, v25
	s_delay_alu instid0(VALU_DEP_4) | instskip(SKIP_4) | instid1(VALU_DEP_3)
	v_mul_hi_u32 v2, v35, v8
	v_sub_co_ci_u32_e64 v38, s15, 0, v26, s15
	s_and_b32 s14, s11, s14
	v_cmp_gt_i64_e64 s15, 0, v[32:33]
	v_cndmask_b32_e64 v37, v25, v37, s14
	v_cndmask_b32_e64 v38, v26, v38, s14
	;; [unrolled: 1-line block ×3, first 2 shown]
	v_mad_u64_u32 v[23:24], null, v36, v8, v[2:3]
	v_mov_b32_e32 v27, v3
	s_and_b32 s15, s11, s15
	s_or_b32 s4, vcc_lo, s4
	v_cndmask_b32_e64 v48, v33, v48, s15
	v_cndmask_b32_e64 v39, v32, v39, s15
	s_delay_alu instid0(VALU_DEP_4) | instskip(SKIP_1) | instid1(VALU_DEP_2)
	v_mov_b32_e32 v26, v24
	v_mov_b32_e32 v2, v23
	v_mad_u64_u32 v[32:33], null, v36, v9, v[26:27]
	s_delay_alu instid0(VALU_DEP_2) | instskip(SKIP_1) | instid1(VALU_DEP_2)
	v_mad_u64_u32 v[23:24], null, v35, v9, v[2:3]
	v_mul_hi_u32 v2, v37, v8
	v_dual_mov_b32 v118, v3 :: v_dual_mov_b32 v25, v24
	s_delay_alu instid0(VALU_DEP_2) | instskip(NEXT) | instid1(VALU_DEP_2)
	v_mad_u64_u32 v[23:24], null, v38, v8, v[2:3]
	v_add_co_u32 v27, s17, v32, v25
	s_delay_alu instid0(VALU_DEP_1) | instskip(NEXT) | instid1(VALU_DEP_3)
	v_add_co_ci_u32_e64 v34, s17, 0, v33, s17
	v_dual_mov_b32 v2, v23 :: v_dual_mov_b32 v117, v24
	s_delay_alu instid0(VALU_DEP_2) | instskip(NEXT) | instid1(VALU_DEP_4)
	v_mul_lo_u32 v51, v34, s18
	v_mul_lo_u32 v128, v27, s19
	v_mad_u64_u32 v[23:24], null, v27, s18, 0
	s_delay_alu instid0(VALU_DEP_4) | instskip(SKIP_2) | instid1(VALU_DEP_4)
	v_mad_u64_u32 v[25:26], null, v37, v9, v[2:3]
	v_mad_u64_u32 v[32:33], null, v38, v9, v[117:118]
	v_mul_hi_u32 v2, v39, v8
	v_add3_u32 v24, v24, v128, v51
	v_sub_co_u32 v23, s17, v35, v23
	v_mov_b32_e32 v35, v26
	s_delay_alu instid0(VALU_DEP_3) | instskip(SKIP_1) | instid1(VALU_DEP_3)
	v_sub_co_ci_u32_e64 v24, s17, v36, v24, s17
	v_mad_u64_u32 v[25:26], null, v48, v8, v[2:3]
	v_add_co_u32 v36, s17, v32, v35
	s_delay_alu instid0(VALU_DEP_1) | instskip(NEXT) | instid1(VALU_DEP_4)
	v_add_co_ci_u32_e64 v51, s17, 0, v33, s17
	v_cmp_le_u64_e64 s17, s[18:19], v[23:24]
	s_delay_alu instid0(VALU_DEP_4) | instskip(SKIP_2) | instid1(VALU_DEP_4)
	v_dual_mov_b32 v119, v3 :: v_dual_mov_b32 v2, v25
	v_dual_mov_b32 v129, v3 :: v_dual_mov_b32 v118, v26
	v_mad_u64_u32 v[23:24], null, v36, s18, 0
	v_cndmask_b32_e64 v32, 0, 1, s17
	s_delay_alu instid0(VALU_DEP_4) | instskip(SKIP_2) | instid1(VALU_DEP_4)
	v_mad_u64_u32 v[25:26], null, v39, v9, v[2:3]
	v_mul_hi_u32 v2, v49, v8
	v_mul_lo_u32 v35, v51, s18
	v_add_co_u32 v27, s17, v27, v32
	v_mul_lo_u32 v117, v36, s19
	v_add_co_ci_u32_e64 v34, s17, 0, v34, s17
	v_mad_u64_u32 v[32:33], null, v48, v9, v[118:119]
	s_delay_alu instid0(VALU_DEP_4) | instskip(NEXT) | instid1(VALU_DEP_1)
	v_sub_co_u32 v118, s17, 0, v27
	v_sub_co_ci_u32_e64 v119, s17, 0, v34, s17
	v_sub_co_u32 v23, s17, v37, v23
	v_mov_b32_e32 v37, v26
	v_mad_u64_u32 v[25:26], null, v50, v8, v[2:3]
	v_add3_u32 v24, v24, v117, v35
	v_cndmask_b32_e64 v35, v34, v119, s13
	v_cndmask_b32_e64 v34, v27, v118, s13
	s_delay_alu instid0(VALU_DEP_3) | instskip(SKIP_2) | instid1(VALU_DEP_1)
	v_sub_co_ci_u32_e64 v24, s13, v38, v24, s17
	v_mov_b32_e32 v2, v25
	v_add_co_u32 v27, s13, v32, v37
	v_add_co_ci_u32_e64 v37, s13, 0, v33, s13
	s_delay_alu instid0(VALU_DEP_4) | instskip(NEXT) | instid1(VALU_DEP_3)
	v_cmp_le_u64_e64 s13, s[18:19], v[23:24]
	v_mul_lo_u32 v117, v27, s19
	v_mad_u64_u32 v[23:24], null, v27, s18, 0
	s_delay_alu instid0(VALU_DEP_4) | instskip(SKIP_3) | instid1(VALU_DEP_2)
	v_mul_lo_u32 v38, v37, s18
	v_mov_b32_e32 v128, v26
	v_cndmask_b32_e64 v32, 0, 1, s13
	v_mad_u64_u32 v[25:26], null, v49, v9, v[2:3]
	v_add_co_u32 v36, s13, v36, v32
	s_delay_alu instid0(VALU_DEP_1) | instskip(SKIP_1) | instid1(VALU_DEP_3)
	v_add_co_ci_u32_e64 v51, s13, 0, v51, s13
	v_mad_u64_u32 v[32:33], null, v50, v9, v[128:129]
	v_sub_co_u32 v2, s13, 0, v36
	v_add3_u32 v24, v24, v117, v38
	s_delay_alu instid0(VALU_DEP_4) | instskip(SKIP_2) | instid1(VALU_DEP_1)
	v_sub_co_ci_u32_e64 v25, s13, 0, v51, s13
	v_mov_b32_e32 v38, v26
	v_sub_co_u32 v23, s13, v39, v23
	v_sub_co_ci_u32_e64 v24, s13, v48, v24, s13
	s_delay_alu instid0(VALU_DEP_4) | instskip(SKIP_2) | instid1(VALU_DEP_1)
	v_cndmask_b32_e64 v26, v51, v25, s14
	v_cndmask_b32_e64 v25, v36, v2, s14
	v_add_co_u32 v2, s13, v32, v38
	v_add_co_ci_u32_e64 v36, s13, 0, v33, s13
	v_cmp_le_u64_e64 s13, s[18:19], v[23:24]
	s_delay_alu instid0(VALU_DEP_3) | instskip(SKIP_1) | instid1(VALU_DEP_4)
	v_mul_lo_u32 v38, v2, s19
	v_mad_u64_u32 v[23:24], null, v2, s18, 0
	v_mul_lo_u32 v33, v36, s18
	s_clause 0x1
	flat_store_b64 v[14:15], v[34:35] glc slc dlc
	flat_store_b64 v[14:15], v[25:26] offset:256 glc slc dlc
	v_cndmask_b32_e64 v32, 0, 1, s13
	s_delay_alu instid0(VALU_DEP_1) | instskip(NEXT) | instid1(VALU_DEP_1)
	v_add_co_u32 v27, s13, v27, v32
	v_add_co_ci_u32_e64 v32, s13, 0, v37, s13
	v_add3_u32 v24, v24, v38, v33
	s_delay_alu instid0(VALU_DEP_3) | instskip(NEXT) | instid1(VALU_DEP_1)
	v_sub_co_u32 v37, s13, 0, v27
	v_sub_co_ci_u32_e64 v39, s13, 0, v32, s13
	v_sub_co_u32 v23, s13, v49, v23
	s_delay_alu instid0(VALU_DEP_1) | instskip(NEXT) | instid1(VALU_DEP_3)
	v_sub_co_ci_u32_e64 v24, s13, v50, v24, s13
	v_cndmask_b32_e64 v33, v32, v39, s15
	v_cndmask_b32_e64 v32, v27, v37, s15
	s_delay_alu instid0(VALU_DEP_3) | instskip(NEXT) | instid1(VALU_DEP_1)
	v_cmp_le_u64_e64 s13, s[18:19], v[23:24]
	v_cndmask_b32_e64 v23, 0, 1, s13
	s_delay_alu instid0(VALU_DEP_1) | instskip(NEXT) | instid1(VALU_DEP_1)
	v_add_co_u32 v2, s13, v2, v23
	v_add_co_ci_u32_e64 v23, s13, 0, v36, s13
	s_delay_alu instid0(VALU_DEP_2) | instskip(NEXT) | instid1(VALU_DEP_1)
	v_sub_co_u32 v27, s13, 0, v2
	v_sub_co_ci_u32_e64 v24, s13, 0, v23, s13
	s_delay_alu instid0(VALU_DEP_1) | instskip(NEXT) | instid1(VALU_DEP_3)
	v_cndmask_b32_e64 v24, v23, v24, s16
	v_cndmask_b32_e64 v23, v2, v27, s16
	s_clause 0x1
	flat_store_b64 v[14:15], v[32:33] offset:512 glc slc dlc
	flat_store_b64 v[14:15], v[23:24] offset:768 glc slc dlc
	s_clause 0x3
	flat_store_b64 v[16:17], v[34:35] glc slc dlc
	flat_store_b64 v[16:17], v[25:26] offset:256 glc slc dlc
	flat_store_b64 v[16:17], v[32:33] offset:512 glc slc dlc
	flat_store_b64 v[16:17], v[23:24] offset:768 glc slc dlc
	v_add_co_u32 v14, s13, v14, v177
	s_delay_alu instid0(VALU_DEP_1) | instskip(SKIP_1) | instid1(VALU_DEP_1)
	v_add_co_ci_u32_e64 v15, s13, v15, v178, s13
	v_add_co_u32 v16, s13, v16, v177
	v_add_co_ci_u32_e64 v17, s13, v17, v178, s13
	s_and_not1_b32 exec_lo, exec_lo, s4
	s_cbranch_execnz .LBB6_695
; %bb.696:                              ;   in Loop: Header=BB6_569 Depth=2
	s_or_b32 exec_lo, exec_lo, s4
.LBB6_697:                              ;   in Loop: Header=BB6_569 Depth=2
	s_delay_alu instid0(SALU_CYCLE_1) | instskip(SKIP_2) | instid1(VALU_DEP_1)
	s_or_b32 exec_lo, exec_lo, s2
	v_lshlrev_b32_e32 v2, 10, v22
	s_mov_b32 s11, exec_lo
	v_cmpx_ne_u32_e64 v18, v2
	s_cbranch_execz .LBB6_709
; %bb.698:                              ;   in Loop: Header=BB6_569 Depth=2
	v_mov_b32_e32 v8, -1
	v_mov_b32_e32 v9, -1
	s_cmp_lt_i32 s22, 1
	s_cbranch_scc1 .LBB6_703
; %bb.699:                              ;   in Loop: Header=BB6_569 Depth=2
	s_cmp_lg_u32 s22, 1
	s_cbranch_scc1 .LBB6_701
; %bb.700:                              ;   in Loop: Header=BB6_569 Depth=2
	s_mov_b32 s15, s25
	s_mov_b32 s14, s23
	s_mov_b64 s[16:17], 1
	s_branch .LBB6_702
.LBB6_701:                              ;   in Loop: Header=BB6_569 Depth=2
	s_mov_b64 s[16:17], 3
	s_mov_b64 s[14:15], 0
.LBB6_702:                              ;   in Loop: Header=BB6_569 Depth=2
	v_cmp_lt_u64_e64 s2, s[16:17], s[18:19]
	s_or_b32 s4, s15, 2.0
	s_delay_alu instid0(VALU_DEP_1)
	s_and_b32 s2, s2, exec_lo
	s_cselect_b32 s2, s15, s4
	s_cselect_b32 s4, 0, s18
	s_cselect_b32 s13, 0, s19
	s_sub_u32 s16, s16, s4
	s_subb_u32 s17, s17, s13
	s_or_b32 s13, s2, 0x20000000
	s_lshl_b64 s[16:17], s[16:17], 1
	s_delay_alu instid0(SALU_CYCLE_1) | instskip(NEXT) | instid1(SALU_CYCLE_1)
	s_or_b32 s16, s16, 1
	v_cmp_lt_u64_e64 s4, s[16:17], s[18:19]
	s_delay_alu instid0(VALU_DEP_1)
	s_and_b32 s4, s4, exec_lo
	s_cselect_b32 s4, 0, s18
	s_cselect_b32 s2, s2, s13
	s_cselect_b32 s13, 0, s19
	s_sub_u32 s16, s16, s4
	s_subb_u32 s17, s17, s13
	s_or_b32 s13, s2, 0x10000000
	s_lshl_b64 s[16:17], s[16:17], 1
	s_delay_alu instid0(SALU_CYCLE_1) | instskip(NEXT) | instid1(SALU_CYCLE_1)
	s_or_b32 s16, s16, 1
	v_cmp_lt_u64_e64 s4, s[16:17], s[18:19]
	;; [unrolled: 12-line block ×30, first 2 shown]
	s_delay_alu instid0(VALU_DEP_1)
	s_and_b32 s4, s4, exec_lo
	s_cselect_b32 s4, 0, s18
	s_cselect_b32 s2, s2, s13
	;; [unrolled: 1-line block ×3, first 2 shown]
	s_sub_u32 s16, s16, s4
	s_subb_u32 s17, s17, s13
	s_or_b32 s13, s14, 0x80000000
	s_lshl_b64 s[16:17], s[16:17], 1
	v_mov_b32_e32 v9, s2
	s_or_b32 s16, s16, 1
	s_delay_alu instid0(SALU_CYCLE_1) | instskip(NEXT) | instid1(VALU_DEP_1)
	v_cmp_lt_u64_e64 s4, s[16:17], s[18:19]
	s_and_b32 s4, s4, exec_lo
	s_cselect_b32 s4, s14, s13
	s_cselect_b32 s13, 0, s18
	;; [unrolled: 1-line block ×3, first 2 shown]
	s_sub_u32 s14, s16, s13
	s_subb_u32 s15, s17, s15
	s_or_b32 s16, s4, 2.0
	s_lshl_b64 s[14:15], s[14:15], 1
	s_delay_alu instid0(SALU_CYCLE_1) | instskip(NEXT) | instid1(SALU_CYCLE_1)
	s_or_b32 s14, s14, 1
	v_cmp_lt_u64_e64 s13, s[14:15], s[18:19]
	s_delay_alu instid0(VALU_DEP_1)
	s_and_b32 s13, s13, exec_lo
	s_cselect_b32 s13, 0, s18
	s_cselect_b32 s4, s4, s16
	s_cselect_b32 s16, 0, s19
	s_sub_u32 s14, s14, s13
	s_subb_u32 s15, s15, s16
	s_or_b32 s16, s4, 0x20000000
	s_lshl_b64 s[14:15], s[14:15], 1
	s_delay_alu instid0(SALU_CYCLE_1) | instskip(NEXT) | instid1(SALU_CYCLE_1)
	s_or_b32 s14, s14, 1
	v_cmp_lt_u64_e64 s13, s[14:15], s[18:19]
	s_delay_alu instid0(VALU_DEP_1)
	s_and_b32 s13, s13, exec_lo
	s_cselect_b32 s13, 0, s18
	s_cselect_b32 s4, s4, s16
	s_cselect_b32 s16, 0, s19
	s_sub_u32 s14, s14, s13
	s_subb_u32 s15, s15, s16
	s_or_b32 s16, s4, 0x10000000
	;; [unrolled: 12-line block ×29, first 2 shown]
	s_lshl_b64 s[14:15], s[14:15], 1
	s_delay_alu instid0(SALU_CYCLE_1) | instskip(NEXT) | instid1(SALU_CYCLE_1)
	s_or_b32 s14, s14, 1
	v_cmp_lt_u64_e64 s13, s[14:15], s[18:19]
	s_delay_alu instid0(VALU_DEP_1)
	s_and_b32 s13, s13, exec_lo
	s_cselect_b32 s13, 0, s18
	s_cselect_b32 s4, s4, s16
	;; [unrolled: 1-line block ×3, first 2 shown]
	s_sub_u32 s14, s14, s13
	s_subb_u32 s15, s15, s16
	s_delay_alu instid0(SALU_CYCLE_1) | instskip(NEXT) | instid1(SALU_CYCLE_1)
	s_lshl_b64 s[14:15], s[14:15], 1
	s_or_b32 s14, s14, 1
	s_delay_alu instid0(SALU_CYCLE_1) | instskip(NEXT) | instid1(VALU_DEP_1)
	v_cmp_ge_u64_e64 s13, s[14:15], s[18:19]
	v_cndmask_b32_e64 v8, 0, 1, s13
	s_delay_alu instid0(VALU_DEP_1)
	v_or_b32_e32 v8, s4, v8
.LBB6_703:                              ;   in Loop: Header=BB6_569 Depth=2
	v_lshlrev_b32_e32 v10, 5, v21
	s_delay_alu instid0(VALU_DEP_1) | instskip(NEXT) | instid1(VALU_DEP_1)
	v_sub_nc_u32_e32 v10, v20, v10
	v_ashrrev_i32_e32 v11, 31, v10
	s_delay_alu instid0(VALU_DEP_1) | instskip(NEXT) | instid1(VALU_DEP_1)
	v_lshrrev_b32_e32 v11, 27, v11
	v_add_nc_u32_e32 v11, v10, v11
	s_delay_alu instid0(VALU_DEP_1) | instskip(SKIP_1) | instid1(VALU_DEP_2)
	v_and_b32_e32 v12, 0x1fffffe0, v11
	v_lshlrev_b32_e32 v11, 3, v11
	v_sub_nc_u32_e32 v10, v10, v12
	s_delay_alu instid0(VALU_DEP_2) | instskip(NEXT) | instid1(VALU_DEP_1)
	v_and_b32_e32 v11, 0xffffff00, v11
	v_lshl_add_u32 v10, v10, 3, v11
	s_delay_alu instid0(VALU_DEP_1) | instskip(NEXT) | instid1(VALU_DEP_1)
	v_add_nc_u32_e32 v11, v2, v10
	v_sub_nc_u32_e32 v20, v18, v11
	s_delay_alu instid0(VALU_DEP_1)
	v_cmp_lt_i32_e32 vcc_lo, 7, v20
	s_and_b32 exec_lo, exec_lo, vcc_lo
	s_cbranch_execz .LBB6_709
; %bb.704:                              ;   in Loop: Header=BB6_569 Depth=2
	s_cbranch_execnz .LBB6_1868
; %bb.705:                              ;   in Loop: Header=BB6_569 Depth=2
	ds_load_b128 v[11:14], v0
	v_add3_u32 v2, v2, v19, v10
	s_cmp_lt_i32 s30, 0
	s_mov_b32 s2, 0
	s_cselect_b32 s4, -1, 0
	s_delay_alu instid0(VALU_DEP_1) | instskip(SKIP_2) | instid1(VALU_DEP_2)
	v_ashrrev_i32_e32 v15, 31, v2
	s_waitcnt lgkmcnt(0)
	v_add_co_u32 v10, vcc_lo, v11, v2
	v_add_co_ci_u32_e32 v11, vcc_lo, v12, v15, vcc_lo
	v_add_co_u32 v12, vcc_lo, v13, v2
	v_add_co_ci_u32_e32 v13, vcc_lo, v14, v15, vcc_lo
	s_delay_alu instid0(VALU_DEP_3) | instskip(NEXT) | instid1(VALU_DEP_2)
	v_dual_mov_b32 v15, v11 :: v_dual_mov_b32 v14, v10
	v_dual_mov_b32 v17, v13 :: v_dual_mov_b32 v16, v12
.LBB6_706:                              ;   Parent Loop BB6_55 Depth=1
                                        ;     Parent Loop BB6_569 Depth=2
                                        ; =>    This Loop Header: Depth=3
                                        ;         Child Loop BB6_707 Depth 4
	flat_load_b64 v[18:19], v[14:15] slc dlc
	flat_load_b64 v[21:22], v[16:17] slc dlc
	s_mov_b64 s[14:15], 0
	s_waitcnt vmcnt(0) lgkmcnt(0)
	v_add_co_u32 v18, vcc_lo, v21, v18
	v_add_co_ci_u32_e32 v19, vcc_lo, v22, v19, vcc_lo
	s_delay_alu instid0(VALU_DEP_2) | instskip(NEXT) | instid1(VALU_DEP_2)
	v_sub_co_u32 v2, s13, 0, v18
	v_cmp_gt_i64_e32 vcc_lo, 0, v[18:19]
	v_sub_co_ci_u32_e64 v21, s13, 0, v19, s13
	s_and_b32 vcc_lo, s4, vcc_lo
	v_mov_b32_e32 v22, v3
	s_delay_alu instid0(VALU_DEP_2) | instskip(NEXT) | instid1(VALU_DEP_1)
	v_dual_cndmask_b32 v25, v19, v21 :: v_dual_cndmask_b32 v26, v18, v2
	v_mul_hi_u32 v2, v26, v8
	s_delay_alu instid0(VALU_DEP_1) | instskip(NEXT) | instid1(VALU_DEP_1)
	v_mad_u64_u32 v[18:19], null, v25, v8, v[2:3]
	v_dual_mov_b32 v2, v18 :: v_dual_mov_b32 v21, v19
	s_delay_alu instid0(VALU_DEP_1) | instskip(NEXT) | instid1(VALU_DEP_2)
	v_mad_u64_u32 v[18:19], null, v26, v9, v[2:3]
	v_mad_u64_u32 v[23:24], null, v25, v9, v[21:22]
	s_delay_alu instid0(VALU_DEP_2) | instskip(NEXT) | instid1(VALU_DEP_1)
	v_mov_b32_e32 v2, v19
	v_add_co_u32 v2, s13, v23, v2
	s_delay_alu instid0(VALU_DEP_1) | instskip(NEXT) | instid1(VALU_DEP_2)
	v_add_co_ci_u32_e64 v21, s13, 0, v24, s13
	v_mul_lo_u32 v23, v2, s19
	v_mad_u64_u32 v[18:19], null, v2, s18, 0
	s_delay_alu instid0(VALU_DEP_3) | instskip(NEXT) | instid1(VALU_DEP_2)
	v_mul_lo_u32 v22, v21, s18
	v_sub_co_u32 v18, s13, v26, v18
	s_delay_alu instid0(VALU_DEP_2) | instskip(NEXT) | instid1(VALU_DEP_1)
	v_add3_u32 v19, v19, v23, v22
	v_sub_co_ci_u32_e64 v19, s13, v25, v19, s13
	s_delay_alu instid0(VALU_DEP_1) | instskip(NEXT) | instid1(VALU_DEP_1)
	v_cmp_le_u64_e64 s13, s[18:19], v[18:19]
	v_cndmask_b32_e64 v18, 0, 1, s13
	s_delay_alu instid0(VALU_DEP_1) | instskip(NEXT) | instid1(VALU_DEP_1)
	v_add_co_u32 v2, s13, v2, v18
	v_add_co_ci_u32_e64 v18, s13, 0, v21, s13
	s_delay_alu instid0(VALU_DEP_2) | instskip(NEXT) | instid1(VALU_DEP_1)
	v_sub_co_u32 v21, s13, 0, v2
	v_sub_co_ci_u32_e64 v19, s13, 0, v18, s13
	s_mov_b32 s13, -1
	s_delay_alu instid0(VALU_DEP_1) | instskip(NEXT) | instid1(VALU_DEP_3)
	v_cndmask_b32_e32 v19, v18, v19, vcc_lo
	v_cndmask_b32_e32 v18, v2, v21, vcc_lo
.LBB6_707:                              ;   Parent Loop BB6_55 Depth=1
                                        ;     Parent Loop BB6_569 Depth=2
                                        ;       Parent Loop BB6_706 Depth=3
                                        ; =>      This Inner Loop Header: Depth=4
	s_cmp_eq_u32 s14, 0
	v_cndmask_b32_e64 v2, 0, 1, s13
	s_cselect_b32 vcc_lo, -1, 0
	s_cmp_eq_u32 s14, 1
	s_cselect_b32 s13, -1, 0
	s_delay_alu instid0(SALU_CYCLE_1) | instskip(SKIP_1) | instid1(VALU_DEP_2)
	v_cndmask_b32_e64 v21, v10, v12, s13
	v_cndmask_b32_e64 v22, v11, v13, s13
	v_add_co_u32 v23, s14, 0x100, v21
	s_delay_alu instid0(VALU_DEP_1) | instskip(SKIP_1) | instid1(VALU_DEP_3)
	v_add_co_ci_u32_e64 v24, s14, 0, v22, s14
	v_cmp_ne_u32_e64 s14, 1, v2
	v_cndmask_b32_e64 v12, v12, v23, s13
	v_cndmask_b32_e32 v10, v10, v23, vcc_lo
	s_delay_alu instid0(VALU_DEP_4)
	v_cndmask_b32_e64 v13, v13, v24, s13
	v_cndmask_b32_e32 v11, v11, v24, vcc_lo
	s_mov_b32 s13, 0
	s_and_b32 vcc_lo, exec_lo, s14
	s_mov_b64 s[14:15], 1
	flat_store_b64 v[21:22], v[18:19] glc slc dlc
	s_cbranch_vccz .LBB6_707
; %bb.708:                              ;   in Loop: Header=BB6_706 Depth=3
	v_add_co_u32 v14, vcc_lo, v14, v180
	v_add_co_ci_u32_e32 v15, vcc_lo, v15, v181, vcc_lo
	v_add_co_u32 v16, vcc_lo, v16, v180
	v_sub_nc_u32_e32 v20, v20, v165
	v_add_co_ci_u32_e32 v17, vcc_lo, v17, v181, vcc_lo
	v_add_co_u32 v10, vcc_lo, v10, v176
	v_add_co_ci_u32_e32 v11, vcc_lo, v11, v179, vcc_lo
	s_delay_alu instid0(VALU_DEP_4) | instskip(SKIP_1) | instid1(VALU_DEP_1)
	v_cmp_gt_i32_e32 vcc_lo, 8, v20
	v_add_co_u32 v12, s13, v12, v176
	v_add_co_ci_u32_e64 v13, s13, v13, v179, s13
	s_or_b32 s2, vcc_lo, s2
	s_delay_alu instid0(SALU_CYCLE_1)
	s_and_not1_b32 exec_lo, exec_lo, s2
	s_cbranch_execnz .LBB6_706
.LBB6_709:                              ;   in Loop: Header=BB6_569 Depth=2
	s_or_b32 exec_lo, exec_lo, s11
.LBB6_710:                              ;   in Loop: Header=BB6_569 Depth=2
	s_delay_alu instid0(SALU_CYCLE_1)
	s_or_b32 exec_lo, exec_lo, s20
	s_mov_b32 s2, 0
.LBB6_711:                              ;   in Loop: Header=BB6_569 Depth=2
	s_delay_alu instid0(SALU_CYCLE_1)
	s_and_b32 vcc_lo, exec_lo, s2
	s_cbranch_vccz .LBB6_769
; %bb.712:                              ;   in Loop: Header=BB6_569 Depth=2
	s_mov_b32 s2, -1
	s_and_saveexec_b32 s4, s12
	s_cbranch_execz .LBB6_714
; %bb.713:                              ;   in Loop: Header=BB6_569 Depth=2
	ds_load_b32 v2, v0 offset:720
	s_waitcnt lgkmcnt(0)
	v_and_b32_e32 v2, 15, v2
	s_delay_alu instid0(VALU_DEP_1)
	v_cmp_eq_u32_e32 vcc_lo, 0, v2
	s_or_not1_b32 s2, vcc_lo, exec_lo
.LBB6_714:                              ;   in Loop: Header=BB6_569 Depth=2
	s_or_b32 exec_lo, exec_lo, s4
	s_and_saveexec_b32 s4, s5
	s_cbranch_execz .LBB6_716
; %bb.715:                              ;   in Loop: Header=BB6_569 Depth=2
	ds_load_b32 v2, v0 offset:784
	s_waitcnt lgkmcnt(0)
	v_and_b32_e32 v2, 15, v2
	s_delay_alu instid0(VALU_DEP_1) | instskip(SKIP_3) | instid1(SALU_CYCLE_1)
	v_cmp_eq_u32_e32 vcc_lo, 0, v2
	s_and_b32 s11, s2, vcc_lo
	s_and_not1_b32 s2, s2, exec_lo
	s_and_b32 s11, s11, exec_lo
	s_or_b32 s2, s2, s11
.LBB6_716:                              ;   in Loop: Header=BB6_569 Depth=2
	s_or_b32 exec_lo, exec_lo, s4
	s_xor_b32 s2, s2, -1
	s_mov_b32 s19, -1
	v_cndmask_b32_e64 v2, 0, 1, s2
	;;#ASMSTART
	;;#ASMEND
	s_delay_alu instid0(VALU_DEP_1)
	v_cmp_ne_u32_e32 vcc_lo, 0, v2
	v_alignbit_b32 v2, v42, v42, 1
	s_cbranch_vccz .LBB6_718
; %bb.717:                              ;   in Loop: Header=BB6_569 Depth=2
	s_delay_alu instid0(VALU_DEP_1) | instskip(SKIP_3) | instid1(VALU_DEP_2)
	v_readfirstlane_b32 s2, v2
	v_readfirstlane_b32 s30, v2
	s_mov_b32 s19, 0
	s_mov_b32 s31, -1
	s_and_b32 s18, s2, 0x7fffffff
	s_delay_alu instid0(SALU_CYCLE_1)
	s_mov_b32 s22, s18
	s_branch .LBB6_719
.LBB6_718:                              ;   in Loop: Header=BB6_569 Depth=2
	s_mov_b32 s31, 0
                                        ; implicit-def: $sgpr30
.LBB6_719:                              ;   in Loop: Header=BB6_569 Depth=2
	s_and_not1_b32 vcc_lo, exec_lo, s19
	s_cbranch_vccnz .LBB6_723
; %bb.720:                              ;   in Loop: Header=BB6_569 Depth=2
	v_readfirstlane_b32 s2, v2
	v_mov_b32_e32 v8, -1
	v_readfirstlane_b32 s30, v2
	v_mov_b32_e32 v9, -1
	s_delay_alu instid0(VALU_DEP_4) | instskip(NEXT) | instid1(SALU_CYCLE_1)
	s_and_b32 s22, s2, 0x7fffffff
	s_cmp_lt_i32 s22, 1
	s_cbranch_scc1 .LBB6_726
; %bb.721:                              ;   in Loop: Header=BB6_569 Depth=2
	s_cmp_lg_u32 s22, 1
	s_cbranch_scc1 .LBB6_724
; %bb.722:                              ;   in Loop: Header=BB6_569 Depth=2
	s_mov_b32 s15, s25
	s_mov_b32 s14, s23
	s_mov_b64 s[16:17], 1
	s_branch .LBB6_725
.LBB6_723:                              ;   in Loop: Header=BB6_569 Depth=2
	v_dual_mov_b32 v16, s19 :: v_dual_mov_b32 v17, v149
	v_mov_b32_e32 v2, v148
	s_branch .LBB6_746
.LBB6_724:                              ;   in Loop: Header=BB6_569 Depth=2
	s_mov_b64 s[16:17], 3
	s_mov_b64 s[14:15], 0
.LBB6_725:                              ;   in Loop: Header=BB6_569 Depth=2
	v_cmp_lt_u64_e64 s2, s[16:17], s[22:23]
	s_or_b32 s4, s15, 2.0
	s_delay_alu instid0(VALU_DEP_1)
	s_and_b32 s2, s2, exec_lo
	s_cselect_b32 s2, s15, s4
	s_cselect_b32 s4, 0, s22
	s_cselect_b32 s11, 0, 0
	s_sub_u32 s16, s16, s4
	s_subb_u32 s17, s17, s11
	s_or_b32 s11, s2, 0x20000000
	s_lshl_b64 s[16:17], s[16:17], 1
	s_delay_alu instid0(SALU_CYCLE_1) | instskip(NEXT) | instid1(SALU_CYCLE_1)
	s_or_b32 s16, s16, 1
	v_cmp_lt_u64_e64 s4, s[16:17], s[22:23]
	s_delay_alu instid0(VALU_DEP_1)
	s_and_b32 s4, s4, exec_lo
	s_cselect_b32 s4, 0, s22
	s_cselect_b32 s2, s2, s11
	s_cselect_b32 s11, 0, 0
	s_sub_u32 s16, s16, s4
	s_subb_u32 s17, s17, s11
	s_or_b32 s11, s2, 0x10000000
	s_lshl_b64 s[16:17], s[16:17], 1
	s_delay_alu instid0(SALU_CYCLE_1) | instskip(NEXT) | instid1(SALU_CYCLE_1)
	s_or_b32 s16, s16, 1
	v_cmp_lt_u64_e64 s4, s[16:17], s[22:23]
	;; [unrolled: 12-line block ×30, first 2 shown]
	s_delay_alu instid0(VALU_DEP_1)
	s_and_b32 s4, s4, exec_lo
	s_cselect_b32 s4, 0, s22
	s_cselect_b32 s2, s2, s11
	;; [unrolled: 1-line block ×3, first 2 shown]
	s_sub_u32 s16, s16, s4
	s_subb_u32 s17, s17, s11
	s_or_b32 s11, s14, 0x80000000
	s_lshl_b64 s[16:17], s[16:17], 1
	v_mov_b32_e32 v9, s2
	s_or_b32 s16, s16, 1
	s_delay_alu instid0(SALU_CYCLE_1) | instskip(NEXT) | instid1(VALU_DEP_1)
	v_cmp_lt_u64_e64 s4, s[16:17], s[22:23]
	s_and_b32 s4, s4, exec_lo
	s_cselect_b32 s4, s14, s11
	s_cselect_b32 s11, 0, s22
	;; [unrolled: 1-line block ×3, first 2 shown]
	s_sub_u32 s14, s16, s11
	s_subb_u32 s15, s17, s13
	s_or_b32 s13, s4, 2.0
	s_lshl_b64 s[14:15], s[14:15], 1
	s_delay_alu instid0(SALU_CYCLE_1) | instskip(NEXT) | instid1(SALU_CYCLE_1)
	s_or_b32 s14, s14, 1
	v_cmp_lt_u64_e64 s11, s[14:15], s[22:23]
	s_delay_alu instid0(VALU_DEP_1)
	s_and_b32 s11, s11, exec_lo
	s_cselect_b32 s11, 0, s22
	s_cselect_b32 s4, s4, s13
	s_cselect_b32 s13, 0, 0
	s_sub_u32 s14, s14, s11
	s_subb_u32 s15, s15, s13
	s_or_b32 s13, s4, 0x20000000
	s_lshl_b64 s[14:15], s[14:15], 1
	s_delay_alu instid0(SALU_CYCLE_1) | instskip(NEXT) | instid1(SALU_CYCLE_1)
	s_or_b32 s14, s14, 1
	v_cmp_lt_u64_e64 s11, s[14:15], s[22:23]
	s_delay_alu instid0(VALU_DEP_1)
	s_and_b32 s11, s11, exec_lo
	s_cselect_b32 s11, 0, s22
	s_cselect_b32 s4, s4, s13
	s_cselect_b32 s13, 0, 0
	s_sub_u32 s14, s14, s11
	s_subb_u32 s15, s15, s13
	s_or_b32 s13, s4, 0x10000000
	;; [unrolled: 12-line block ×29, first 2 shown]
	s_lshl_b64 s[14:15], s[14:15], 1
	s_delay_alu instid0(SALU_CYCLE_1) | instskip(NEXT) | instid1(SALU_CYCLE_1)
	s_or_b32 s14, s14, 1
	v_cmp_lt_u64_e64 s11, s[14:15], s[22:23]
	s_delay_alu instid0(VALU_DEP_1)
	s_and_b32 s11, s11, exec_lo
	s_cselect_b32 s11, 0, s22
	s_cselect_b32 s4, s4, s13
	;; [unrolled: 1-line block ×3, first 2 shown]
	s_sub_u32 s14, s14, s11
	s_subb_u32 s15, s15, s13
	s_delay_alu instid0(SALU_CYCLE_1) | instskip(NEXT) | instid1(SALU_CYCLE_1)
	s_lshl_b64 s[14:15], s[14:15], 1
	s_or_b32 s14, s14, 1
	s_delay_alu instid0(SALU_CYCLE_1) | instskip(NEXT) | instid1(VALU_DEP_1)
	v_cmp_ge_u64_e64 s11, s[14:15], s[22:23]
	v_cndmask_b32_e64 v2, 0, 1, s11
	s_delay_alu instid0(VALU_DEP_1)
	v_or_b32_e32 v8, s4, v2
.LBB6_726:                              ;   in Loop: Header=BB6_569 Depth=2
	v_ashrrev_i32_e32 v2, 31, v43
	s_mov_b32 s11, exec_lo
	s_delay_alu instid0(VALU_DEP_1) | instskip(NEXT) | instid1(VALU_DEP_1)
	v_lshrrev_b32_e32 v2, 21, v2
	v_add_nc_u32_e32 v2, v43, v2
	s_delay_alu instid0(VALU_DEP_1) | instskip(NEXT) | instid1(VALU_DEP_1)
	v_ashrrev_i32_e32 v19, 11, v2
	v_sub_nc_u32_e32 v18, v19, v148
	s_delay_alu instid0(VALU_DEP_1)
	v_cmpx_lt_i32_e32 0, v18
	s_cbranch_execz .LBB6_731
; %bb.727:                              ;   in Loop: Header=BB6_569 Depth=2
	s_cbranch_execnz .LBB6_1814
; %bb.728:                              ;   in Loop: Header=BB6_569 Depth=2
	ds_load_b128 v[10:13], v0
	ds_load_b64 v[14:15], v0
	s_cmp_lt_i32 s30, 0
	s_mov_b32 s24, 0
	s_cselect_b32 s34, -1, 0
	s_waitcnt lgkmcnt(1)
	v_add_co_u32 v10, vcc_lo, v10, v182
	v_add_co_ci_u32_e32 v11, vcc_lo, v11, v183, vcc_lo
	v_add_co_u32 v12, vcc_lo, v12, v182
	v_add_co_ci_u32_e32 v13, vcc_lo, v13, v183, vcc_lo
	s_waitcnt lgkmcnt(0)
	v_add_co_u32 v14, vcc_lo, v14, v182
	v_add_co_ci_u32_e32 v15, vcc_lo, v15, v183, vcc_lo
.LBB6_729:                              ;   Parent Loop BB6_55 Depth=1
                                        ;     Parent Loop BB6_569 Depth=2
                                        ; =>    This Inner Loop Header: Depth=3
	global_load_b128 v[20:23], v[12:13], off slc dlc
	s_clause 0x1
	global_load_b128 v[24:27], v[10:11], off slc dlc
	global_load_b128 v[32:35], v[10:11], off offset:512 slc dlc
	s_clause 0x1
	global_load_b128 v[36:39], v[12:13], off offset:512 slc dlc
	global_load_b128 v[48:51], v[12:13], off offset:1024 slc dlc
	s_clause 0x1
	global_load_b128 v[128:131], v[10:11], off offset:1024 slc dlc
	global_load_b128 v[132:135], v[10:11], off offset:1536 slc dlc
	;; [unrolled: 1-line block ×3, first 2 shown]
	v_dual_mov_b32 v17, v3 :: v_dual_mov_b32 v42, v40
	v_sub_nc_u32_e32 v18, v18, v147
	v_dual_mov_b32 v119, v3 :: v_dual_mov_b32 v62, v116
	s_delay_alu instid0(VALU_DEP_3) | instskip(NEXT) | instid1(VALU_DEP_2)
	v_add_co_u32 v10, vcc_lo, v10, v42
	v_add_co_ci_u32_e32 v11, vcc_lo, v11, v62, vcc_lo
	v_add_co_u32 v12, vcc_lo, v12, v42
	v_add_co_ci_u32_e32 v13, vcc_lo, v13, v62, vcc_lo
	v_cmp_gt_i32_e32 vcc_lo, 1, v18
	s_waitcnt vmcnt(6)
	v_add_co_u32 v20, s13, v20, v24
	s_delay_alu instid0(VALU_DEP_1) | instskip(SKIP_1) | instid1(VALU_DEP_1)
	v_add_co_ci_u32_e64 v21, s13, v21, v25, s13
	v_add_co_u32 v22, s13, v22, v26
	v_add_co_ci_u32_e64 v23, s13, v23, v27, s13
	s_waitcnt vmcnt(4)
	v_add_co_u32 v24, s13, v36, v32
	s_delay_alu instid0(VALU_DEP_1) | instskip(SKIP_1) | instid1(VALU_DEP_1)
	v_add_co_ci_u32_e64 v25, s13, v37, v33, s13
	v_add_co_u32 v26, s13, v38, v34
	v_add_co_ci_u32_e64 v27, s13, v39, v35, s13
	;; [unrolled: 6-line block ×3, first 2 shown]
	s_waitcnt vmcnt(0)
	v_add_co_u32 v36, s13, v44, v132
	s_delay_alu instid0(VALU_DEP_1)
	v_add_co_ci_u32_e64 v37, s13, v45, v133, s13
	v_add_co_u32 v38, s13, v46, v134
	v_sub_co_u32 v50, s16, 0, v24
	v_add_co_ci_u32_e64 v39, s13, v47, v135, s13
	v_sub_co_ci_u32_e64 v51, s16, 0, v25, s16
	v_cmp_gt_i64_e64 s13, 0, v[20:21]
	v_cmp_gt_i64_e64 s16, 0, v[26:27]
	v_sub_co_u32 v117, s17, 0, v26
	v_sub_co_u32 v2, s14, 0, v20
	v_sub_co_ci_u32_e64 v128, s17, 0, v27, s17
	s_and_b32 s13, s34, s13
	s_delay_alu instid0(VALU_DEP_4) | instskip(SKIP_1) | instid1(VALU_DEP_2)
	s_and_b32 s16, s34, s16
	v_sub_co_ci_u32_e64 v16, s14, 0, v21, s14
	v_cndmask_b32_e64 v128, v27, v128, s16
	v_cndmask_b32_e64 v27, v20, v2, s13
	v_cmp_gt_i64_e64 s14, 0, v[22:23]
	s_delay_alu instid0(VALU_DEP_4)
	v_cndmask_b32_e64 v45, v21, v16, s13
	v_cmp_gt_i64_e64 s17, 0, v[32:33]
	v_sub_co_u32 v129, s18, 0, v32
	v_mul_hi_u32 v2, v27, v8
	v_sub_co_u32 v48, s15, 0, v22
	v_sub_co_ci_u32_e64 v130, s18, 0, v33, s18
	s_and_b32 s14, s34, s14
	s_and_b32 s17, s34, s17
	v_sub_co_ci_u32_e64 v49, s15, 0, v23, s15
	s_delay_alu instid0(VALU_DEP_4)
	v_mad_u64_u32 v[20:21], null, v45, v8, v[2:3]
	v_mov_b32_e32 v57, v3
	v_cndmask_b32_e64 v130, v33, v130, s17
	v_cndmask_b32_e64 v33, v22, v48, s14
	v_mov_b32_e32 v59, v3
	v_sub_co_u32 v131, s19, 0, v34
	v_mov_b32_e32 v16, v21
	v_mov_b32_e32 v2, v20
	v_cndmask_b32_e64 v49, v23, v49, s14
	v_sub_co_ci_u32_e64 v132, s19, 0, v35, s19
	v_cmp_gt_i64_e64 s19, 0, v[36:37]
	s_delay_alu instid0(VALU_DEP_4) | instskip(SKIP_3) | instid1(VALU_DEP_4)
	v_mad_u64_u32 v[20:21], null, v27, v9, v[2:3]
	v_mul_hi_u32 v2, v33, v8
	v_mad_u64_u32 v[22:23], null, v45, v9, v[16:17]
	v_sub_co_u32 v133, s20, 0, v36
	v_dual_mov_b32 v61, v3 :: v_dual_mov_b32 v20, v21
	v_sub_co_ci_u32_e64 v134, s20, 0, v37, s20
	v_mad_u64_u32 v[16:17], null, v49, v8, v[2:3]
	v_sub_co_u32 v135, s21, 0, v38
	v_cmp_gt_i64_e64 s15, 0, v[24:25]
	v_cmp_gt_i64_e64 s18, 0, v[34:35]
	s_and_b32 s19, s34, s19
	v_sub_co_ci_u32_e64 v44, s21, 0, v39, s21
	v_cndmask_b32_e64 v134, v37, v134, s19
	v_cndmask_b32_e64 v37, v26, v117, s16
	v_add_co_u32 v26, s21, v22, v20
	v_mov_b32_e32 v2, v16
	s_and_b32 s15, s34, s15
	s_and_b32 s18, s34, s18
	v_dual_mov_b32 v118, v3 :: v_dual_mov_b32 v117, v17
	v_mad_u64_u32 v[16:17], null, v26, s22, 0
	v_cndmask_b32_e64 v132, v35, v132, s18
	v_cndmask_b32_e64 v35, v24, v50, s15
	;; [unrolled: 1-line block ×3, first 2 shown]
	v_add_co_ci_u32_e64 v32, s21, 0, v23, s21
	v_mad_u64_u32 v[20:21], null, v33, v9, v[2:3]
	s_delay_alu instid0(VALU_DEP_4)
	v_mul_hi_u32 v2, v35, v8
	v_cndmask_b32_e64 v51, v25, v51, s15
	v_mad_u64_u32 v[22:23], null, v49, v9, v[117:118]
	v_mad_u64_u32 v[24:25], null, v32, s22, v[17:18]
	v_cndmask_b32_e64 v50, v34, v131, s18
	v_mov_b32_e32 v34, v21
	v_mad_u64_u32 v[20:21], null, v51, v8, v[2:3]
	v_mov_b32_e32 v58, v3
	v_cndmask_b32_e64 v129, v36, v133, s19
	v_mov_b32_e32 v17, v24
	v_add_co_u32 v34, s21, v22, v34
	s_delay_alu instid0(VALU_DEP_1) | instskip(SKIP_1) | instid1(VALU_DEP_1)
	v_add_co_ci_u32_e64 v36, s21, 0, v23, s21
	v_sub_co_u32 v16, s21, v27, v16
	v_sub_co_ci_u32_e64 v17, s21, v45, v17, s21
	v_mov_b32_e32 v2, v20
	v_mov_b32_e32 v118, v21
	v_mad_u64_u32 v[20:21], null, v34, s22, 0
	s_delay_alu instid0(VALU_DEP_4) | instskip(NEXT) | instid1(VALU_DEP_4)
	v_cmp_le_u64_e64 s21, s[22:23], v[16:17]
	v_mad_u64_u32 v[22:23], null, v35, v9, v[2:3]
	v_mul_hi_u32 v2, v37, v8
	v_mad_u64_u32 v[24:25], null, v51, v9, v[118:119]
	s_delay_alu instid0(VALU_DEP_4)
	v_cndmask_b32_e64 v27, 0, 1, s21
	v_cmp_gt_i64_e64 s20, 0, v[38:39]
	v_mov_b32_e32 v117, v23
	v_mad_u64_u32 v[22:23], null, v36, s22, v[21:22]
	v_mad_u64_u32 v[16:17], null, v128, v8, v[2:3]
	v_add_co_u32 v27, s21, v26, v27
	s_delay_alu instid0(VALU_DEP_1) | instskip(SKIP_1) | instid1(VALU_DEP_1)
	v_add_co_ci_u32_e64 v21, s21, 0, v32, s21
	v_add_co_u32 v117, s21, v24, v117
	v_add_co_ci_u32_e64 v118, s21, 0, v25, s21
	s_delay_alu instid0(VALU_DEP_4) | instskip(SKIP_4) | instid1(VALU_DEP_4)
	v_sub_co_u32 v32, s21, 0, v27
	v_mov_b32_e32 v2, v16
	v_dual_mov_b32 v60, v3 :: v_dual_mov_b32 v131, v22
	v_sub_co_ci_u32_e64 v119, s21, 0, v21, s21
	v_sub_co_u32 v22, s21, v33, v20
	v_mad_u64_u32 v[23:24], null, v37, v9, v[2:3]
	s_delay_alu instid0(VALU_DEP_3) | instskip(SKIP_4) | instid1(VALU_DEP_3)
	v_cndmask_b32_e64 v21, v21, v119, s13
	v_cndmask_b32_e64 v20, v27, v32, s13
	v_sub_co_ci_u32_e64 v23, s13, v49, v131, s21
	v_mov_b32_e32 v56, v17
	v_mad_u64_u32 v[16:17], null, v117, s22, 0
	v_cmp_le_u64_e64 s13, s[22:23], v[22:23]
	v_mul_hi_u32 v2, v48, v8
	s_delay_alu instid0(VALU_DEP_4) | instskip(SKIP_2) | instid1(VALU_DEP_3)
	v_mad_u64_u32 v[25:26], null, v128, v9, v[56:57]
	s_and_b32 s20, s34, s20
	s_or_b32 s24, vcc_lo, s24
	v_cndmask_b32_e64 v27, 0, 1, s13
	v_mad_u64_u32 v[32:33], null, v118, s22, v[17:18]
	s_delay_alu instid0(VALU_DEP_4) | instskip(NEXT) | instid1(VALU_DEP_3)
	v_mad_u64_u32 v[22:23], null, v130, v8, v[2:3]
	v_add_co_u32 v17, s13, v34, v27
	s_delay_alu instid0(VALU_DEP_1) | instskip(SKIP_1) | instid1(VALU_DEP_1)
	v_add_co_ci_u32_e64 v34, s13, 0, v36, s13
	v_add_co_u32 v36, s13, v25, v24
	v_add_co_ci_u32_e64 v49, s13, 0, v26, s13
	v_mov_b32_e32 v2, v22
	v_sub_co_u32 v22, s13, 0, v17
	v_mov_b32_e32 v119, v32
	v_mov_b32_e32 v57, v23
	v_sub_co_ci_u32_e64 v23, s13, 0, v34, s13
	v_sub_co_u32 v16, s13, v35, v16
	v_cndmask_b32_e64 v22, v17, v22, s14
	v_sub_co_ci_u32_e64 v17, s13, v51, v119, s13
	v_mad_u64_u32 v[24:25], null, v36, s22, 0
	v_mad_u64_u32 v[26:27], null, v48, v9, v[2:3]
	s_delay_alu instid0(VALU_DEP_3)
	v_cmp_le_u64_e64 s13, s[22:23], v[16:17]
	v_mad_u64_u32 v[32:33], null, v130, v9, v[57:58]
	v_cndmask_b32_e64 v23, v34, v23, s14
	v_mul_hi_u32 v2, v50, v8
	v_cndmask_b32_e64 v38, v38, v135, s20
	v_cndmask_b32_e64 v34, 0, 1, s13
	v_mov_b32_e32 v35, v27
	v_mad_u64_u32 v[26:27], null, v49, s22, v[25:26]
	v_cndmask_b32_e64 v39, v39, v44, s20
	s_delay_alu instid0(VALU_DEP_4) | instskip(NEXT) | instid1(VALU_DEP_1)
	v_add_co_u32 v27, s13, v117, v34
	v_add_co_ci_u32_e64 v25, s13, 0, v118, s13
	v_add_co_u32 v51, s13, v32, v35
	v_mad_u64_u32 v[16:17], null, v132, v8, v[2:3]
	v_add_co_ci_u32_e64 v117, s13, 0, v33, s13
	v_sub_co_u32 v118, s13, 0, v27
	v_mov_b32_e32 v131, v26
	v_sub_co_ci_u32_e64 v119, s13, 0, v25, s13
	v_sub_co_u32 v26, s13, v37, v24
	s_delay_alu instid0(VALU_DEP_4) | instskip(NEXT) | instid1(VALU_DEP_4)
	v_cndmask_b32_e64 v24, v27, v118, s15
	v_sub_co_ci_u32_e64 v27, s13, v128, v131, s13
	v_mov_b32_e32 v2, v16
	v_mov_b32_e32 v58, v17
	v_mad_u64_u32 v[16:17], null, v51, s22, 0
	s_delay_alu instid0(VALU_DEP_4) | instskip(NEXT) | instid1(VALU_DEP_4)
	v_cmp_le_u64_e64 s13, s[22:23], v[26:27]
	v_mad_u64_u32 v[32:33], null, v50, v9, v[2:3]
	v_mul_hi_u32 v2, v129, v8
	v_mad_u64_u32 v[34:35], null, v132, v9, v[58:59]
	s_delay_alu instid0(VALU_DEP_4)
	v_cndmask_b32_e64 v37, 0, 1, s13
	v_cndmask_b32_e64 v25, v25, v119, s15
	v_mov_b32_e32 v118, v33
	v_mad_u64_u32 v[32:33], null, v117, s22, v[17:18]
	v_mad_u64_u32 v[26:27], null, v134, v8, v[2:3]
	v_add_co_u32 v17, s13, v36, v37
	s_delay_alu instid0(VALU_DEP_1) | instskip(SKIP_1) | instid1(VALU_DEP_1)
	v_add_co_ci_u32_e64 v49, s13, 0, v49, s13
	v_add_co_u32 v118, s13, v34, v118
	v_add_co_ci_u32_e64 v119, s13, 0, v35, s13
	v_mov_b32_e32 v2, v26
	v_sub_co_u32 v26, s13, 0, v17
	v_dual_mov_b32 v128, v32 :: v_dual_mov_b32 v59, v27
	v_sub_co_ci_u32_e64 v27, s13, 0, v49, s13
	v_sub_co_u32 v16, s13, v48, v16
	s_delay_alu instid0(VALU_DEP_4) | instskip(NEXT) | instid1(VALU_DEP_4)
	v_cndmask_b32_e64 v26, v17, v26, s16
	v_sub_co_ci_u32_e64 v17, s13, v130, v128, s13
	v_mad_u64_u32 v[32:33], null, v118, s22, 0
	v_mad_u64_u32 v[34:35], null, v129, v9, v[2:3]
	v_mul_hi_u32 v2, v38, v8
	s_delay_alu instid0(VALU_DEP_4)
	v_cmp_le_u64_e64 s13, s[22:23], v[16:17]
	v_cndmask_b32_e64 v27, v49, v27, s16
	global_store_b128 v[14:15], v[20:23], off glc slc dlc
	v_mov_b32_e32 v20, v33
	v_mad_u64_u32 v[36:37], null, v134, v9, v[59:60]
	global_store_b128 v[14:15], v[24:27], off offset:512 glc slc dlc
	v_cndmask_b32_e64 v23, 0, 1, s13
	v_mad_u64_u32 v[16:17], null, v39, v8, v[2:3]
	v_mov_b32_e32 v24, v35
	v_mad_u64_u32 v[21:22], null, v119, s22, v[20:21]
	s_delay_alu instid0(VALU_DEP_4) | instskip(NEXT) | instid1(VALU_DEP_1)
	v_add_co_u32 v20, s13, v51, v23
	v_add_co_ci_u32_e64 v27, s13, 0, v117, s13
	s_delay_alu instid0(VALU_DEP_4) | instskip(NEXT) | instid1(VALU_DEP_1)
	v_add_co_u32 v33, s13, v36, v24
	v_add_co_ci_u32_e64 v34, s13, 0, v37, s13
	v_mov_b32_e32 v2, v16
	v_sub_co_u32 v35, s13, 0, v20
	v_mov_b32_e32 v37, v21
	v_sub_co_ci_u32_e64 v36, s13, 0, v27, s13
	v_sub_co_u32 v22, s13, v50, v32
	v_mad_u64_u32 v[23:24], null, v38, v9, v[2:3]
	s_delay_alu instid0(VALU_DEP_4) | instskip(SKIP_2) | instid1(VALU_DEP_3)
	v_sub_co_ci_u32_e64 v23, s13, v132, v37, s13
	v_mov_b32_e32 v60, v17
	v_mad_u64_u32 v[16:17], null, v33, s22, 0
	v_cmp_le_u64_e64 s13, s[22:23], v[22:23]
	v_cndmask_b32_e64 v21, v27, v36, s17
	s_delay_alu instid0(VALU_DEP_4) | instskip(SKIP_3) | instid1(VALU_DEP_2)
	v_mad_u64_u32 v[25:26], null, v39, v9, v[60:61]
	v_cndmask_b32_e64 v20, v20, v35, s17
	v_mov_b32_e32 v2, v17
	v_cndmask_b32_e64 v17, 0, 1, s13
	v_mad_u64_u32 v[22:23], null, v34, s22, v[2:3]
	s_delay_alu instid0(VALU_DEP_2) | instskip(NEXT) | instid1(VALU_DEP_1)
	v_add_co_u32 v2, s13, v118, v17
	v_add_co_ci_u32_e64 v17, s13, 0, v119, s13
	v_add_co_u32 v27, s13, v25, v24
	s_delay_alu instid0(VALU_DEP_1) | instskip(NEXT) | instid1(VALU_DEP_4)
	v_add_co_ci_u32_e64 v26, s13, 0, v26, s13
	v_sub_co_u32 v32, s13, 0, v2
	s_delay_alu instid0(VALU_DEP_1) | instskip(SKIP_2) | instid1(VALU_DEP_3)
	v_sub_co_ci_u32_e64 v23, s13, 0, v17, s13
	v_mov_b32_e32 v35, v22
	v_sub_co_u32 v16, s13, v129, v16
	v_cndmask_b32_e64 v23, v17, v23, s18
	v_mad_u64_u32 v[24:25], null, v27, s22, 0
	s_delay_alu instid0(VALU_DEP_4) | instskip(SKIP_1) | instid1(VALU_DEP_2)
	v_sub_co_ci_u32_e64 v17, s13, v134, v35, s13
	v_cndmask_b32_e64 v22, v2, v32, s18
	v_cmp_le_u64_e64 s13, s[22:23], v[16:17]
	s_delay_alu instid0(VALU_DEP_4) | instskip(NEXT) | instid1(VALU_DEP_2)
	v_mov_b32_e32 v2, v25
	v_cndmask_b32_e64 v25, 0, 1, s13
	s_delay_alu instid0(VALU_DEP_2) | instskip(NEXT) | instid1(VALU_DEP_2)
	v_mad_u64_u32 v[16:17], null, v26, s22, v[2:3]
	v_add_co_u32 v2, s13, v33, v25
	s_delay_alu instid0(VALU_DEP_1) | instskip(NEXT) | instid1(VALU_DEP_3)
	v_add_co_ci_u32_e64 v17, s13, 0, v34, s13
	v_mov_b32_e32 v33, v16
	s_delay_alu instid0(VALU_DEP_3) | instskip(NEXT) | instid1(VALU_DEP_1)
	v_sub_co_u32 v32, s13, 0, v2
	v_sub_co_ci_u32_e64 v25, s13, 0, v17, s13
	v_sub_co_u32 v16, s13, v38, v24
	s_delay_alu instid0(VALU_DEP_3) | instskip(NEXT) | instid1(VALU_DEP_3)
	v_cndmask_b32_e64 v24, v2, v32, s19
	v_cndmask_b32_e64 v25, v17, v25, s19
	v_sub_co_ci_u32_e64 v17, s13, v39, v33, s13
	s_delay_alu instid0(VALU_DEP_1) | instskip(NEXT) | instid1(VALU_DEP_1)
	v_cmp_le_u64_e64 s13, s[22:23], v[16:17]
	v_cndmask_b32_e64 v2, 0, 1, s13
	s_delay_alu instid0(VALU_DEP_1) | instskip(NEXT) | instid1(VALU_DEP_1)
	v_add_co_u32 v2, s13, v27, v2
	v_add_co_ci_u32_e64 v16, s13, 0, v26, s13
	s_delay_alu instid0(VALU_DEP_2) | instskip(NEXT) | instid1(VALU_DEP_1)
	v_sub_co_u32 v17, s13, 0, v2
	v_sub_co_ci_u32_e64 v26, s13, 0, v16, s13
	s_delay_alu instid0(VALU_DEP_1) | instskip(NEXT) | instid1(VALU_DEP_3)
	v_cndmask_b32_e64 v27, v16, v26, s20
	v_cndmask_b32_e64 v26, v2, v17, s20
	s_clause 0x1
	global_store_b128 v[14:15], v[20:23], off offset:1024 glc slc dlc
	global_store_b128 v[14:15], v[24:27], off offset:1536 glc slc dlc
	v_add_co_u32 v14, s13, v14, v42
	s_delay_alu instid0(VALU_DEP_1)
	v_add_co_ci_u32_e64 v15, s13, v15, v62, s13
	s_and_not1_b32 exec_lo, exec_lo, s24
	s_cbranch_execnz .LBB6_729
; %bb.730:                              ;   in Loop: Header=BB6_569 Depth=2
	s_or_b32 exec_lo, exec_lo, s24
.LBB6_731:                              ;   in Loop: Header=BB6_569 Depth=2
	s_delay_alu instid0(SALU_CYCLE_1) | instskip(SKIP_2) | instid1(VALU_DEP_1)
	s_or_b32 exec_lo, exec_lo, s11
	v_lshlrev_b32_e32 v19, 11, v19
	s_mov_b32 s11, exec_lo
                                        ; implicit-def: $vgpr16
                                        ; implicit-def: $vgpr17
                                        ; implicit-def: $sgpr18_sgpr19
                                        ; implicit-def: $vgpr2
	v_cmpx_ne_u32_e64 v43, v19
	s_cbranch_execz .LBB6_745
; %bb.732:                              ;   in Loop: Header=BB6_569 Depth=2
	v_mov_b32_e32 v8, -1
	v_mov_b32_e32 v9, -1
	s_cmp_lt_i32 s22, 1
	s_cbranch_scc1 .LBB6_737
; %bb.733:                              ;   in Loop: Header=BB6_569 Depth=2
	s_cmp_lg_u32 s22, 1
	s_cbranch_scc1 .LBB6_735
; %bb.734:                              ;   in Loop: Header=BB6_569 Depth=2
	s_mov_b32 s15, s25
	s_mov_b32 s14, s23
	s_mov_b64 s[16:17], 1
	s_branch .LBB6_736
.LBB6_735:                              ;   in Loop: Header=BB6_569 Depth=2
	s_mov_b64 s[16:17], 3
	s_mov_b64 s[14:15], 0
.LBB6_736:                              ;   in Loop: Header=BB6_569 Depth=2
	v_cmp_lt_u64_e64 s2, s[16:17], s[22:23]
	s_or_b32 s4, s15, 2.0
	s_delay_alu instid0(VALU_DEP_1)
	s_and_b32 s2, s2, exec_lo
	s_cselect_b32 s2, s15, s4
	s_cselect_b32 s4, 0, s22
	s_cselect_b32 s13, 0, 0
	s_sub_u32 s16, s16, s4
	s_subb_u32 s17, s17, s13
	s_or_b32 s13, s2, 0x20000000
	s_lshl_b64 s[16:17], s[16:17], 1
	s_delay_alu instid0(SALU_CYCLE_1) | instskip(NEXT) | instid1(SALU_CYCLE_1)
	s_or_b32 s16, s16, 1
	v_cmp_lt_u64_e64 s4, s[16:17], s[22:23]
	s_delay_alu instid0(VALU_DEP_1)
	s_and_b32 s4, s4, exec_lo
	s_cselect_b32 s4, 0, s22
	s_cselect_b32 s2, s2, s13
	s_cselect_b32 s13, 0, 0
	s_sub_u32 s16, s16, s4
	s_subb_u32 s17, s17, s13
	s_or_b32 s13, s2, 0x10000000
	s_lshl_b64 s[16:17], s[16:17], 1
	s_delay_alu instid0(SALU_CYCLE_1) | instskip(NEXT) | instid1(SALU_CYCLE_1)
	s_or_b32 s16, s16, 1
	v_cmp_lt_u64_e64 s4, s[16:17], s[22:23]
	;; [unrolled: 12-line block ×30, first 2 shown]
	s_delay_alu instid0(VALU_DEP_1)
	s_and_b32 s4, s4, exec_lo
	s_cselect_b32 s4, 0, s22
	s_cselect_b32 s2, s2, s13
	;; [unrolled: 1-line block ×3, first 2 shown]
	s_sub_u32 s16, s16, s4
	s_subb_u32 s17, s17, s13
	s_or_b32 s13, s14, 0x80000000
	s_lshl_b64 s[16:17], s[16:17], 1
	v_mov_b32_e32 v9, s2
	s_or_b32 s16, s16, 1
	s_delay_alu instid0(SALU_CYCLE_1) | instskip(NEXT) | instid1(VALU_DEP_1)
	v_cmp_lt_u64_e64 s4, s[16:17], s[22:23]
	s_and_b32 s4, s4, exec_lo
	s_cselect_b32 s4, s14, s13
	s_cselect_b32 s13, 0, s22
	;; [unrolled: 1-line block ×3, first 2 shown]
	s_sub_u32 s14, s16, s13
	s_subb_u32 s15, s17, s15
	s_or_b32 s16, s4, 2.0
	s_lshl_b64 s[14:15], s[14:15], 1
	s_delay_alu instid0(SALU_CYCLE_1) | instskip(NEXT) | instid1(SALU_CYCLE_1)
	s_or_b32 s14, s14, 1
	v_cmp_lt_u64_e64 s13, s[14:15], s[22:23]
	s_delay_alu instid0(VALU_DEP_1)
	s_and_b32 s13, s13, exec_lo
	s_cselect_b32 s13, 0, s22
	s_cselect_b32 s4, s4, s16
	s_cselect_b32 s16, 0, 0
	s_sub_u32 s14, s14, s13
	s_subb_u32 s15, s15, s16
	s_or_b32 s16, s4, 0x20000000
	s_lshl_b64 s[14:15], s[14:15], 1
	s_delay_alu instid0(SALU_CYCLE_1) | instskip(NEXT) | instid1(SALU_CYCLE_1)
	s_or_b32 s14, s14, 1
	v_cmp_lt_u64_e64 s13, s[14:15], s[22:23]
	s_delay_alu instid0(VALU_DEP_1)
	s_and_b32 s13, s13, exec_lo
	s_cselect_b32 s13, 0, s22
	s_cselect_b32 s4, s4, s16
	s_cselect_b32 s16, 0, 0
	s_sub_u32 s14, s14, s13
	s_subb_u32 s15, s15, s16
	s_or_b32 s16, s4, 0x10000000
	;; [unrolled: 12-line block ×29, first 2 shown]
	s_lshl_b64 s[14:15], s[14:15], 1
	s_delay_alu instid0(SALU_CYCLE_1) | instskip(NEXT) | instid1(SALU_CYCLE_1)
	s_or_b32 s14, s14, 1
	v_cmp_lt_u64_e64 s13, s[14:15], s[22:23]
	s_delay_alu instid0(VALU_DEP_1)
	s_and_b32 s13, s13, exec_lo
	s_cselect_b32 s13, 0, s22
	s_cselect_b32 s4, s4, s16
	;; [unrolled: 1-line block ×3, first 2 shown]
	s_sub_u32 s14, s14, s13
	s_subb_u32 s15, s15, s16
	s_delay_alu instid0(SALU_CYCLE_1) | instskip(NEXT) | instid1(SALU_CYCLE_1)
	s_lshl_b64 s[14:15], s[14:15], 1
	s_or_b32 s14, s14, 1
	s_delay_alu instid0(SALU_CYCLE_1) | instskip(NEXT) | instid1(VALU_DEP_1)
	v_cmp_ge_u64_e64 s13, s[14:15], s[22:23]
	v_cndmask_b32_e64 v2, 0, 1, s13
	s_delay_alu instid0(VALU_DEP_1)
	v_or_b32_e32 v8, s4, v2
.LBB6_737:                              ;   in Loop: Header=BB6_569 Depth=2
	v_lshlrev_b32_e32 v2, 5, v18
	v_sub_nc_u32_e32 v11, v43, v19
	s_mov_b32 s2, exec_lo
	s_delay_alu instid0(VALU_DEP_2) | instskip(NEXT) | instid1(VALU_DEP_2)
	v_sub_nc_u32_e32 v2, v149, v2
	v_ashrrev_i32_e32 v12, 31, v11
	s_delay_alu instid0(VALU_DEP_2) | instskip(NEXT) | instid1(VALU_DEP_2)
	v_ashrrev_i32_e32 v10, 31, v2
	v_lshrrev_b32_e32 v12, 23, v12
	s_delay_alu instid0(VALU_DEP_2) | instskip(NEXT) | instid1(VALU_DEP_2)
	v_lshrrev_b32_e32 v10, 27, v10
	v_add_nc_u32_e32 v12, v11, v12
	s_delay_alu instid0(VALU_DEP_2) | instskip(NEXT) | instid1(VALU_DEP_2)
	v_add_nc_u32_e32 v10, v2, v10
	v_and_b32_e32 v18, 0xfffffe00, v12
	v_ashrrev_i32_e32 v12, 9, v12
	s_delay_alu instid0(VALU_DEP_3) | instskip(NEXT) | instid1(VALU_DEP_3)
	v_and_b32_e32 v13, 0xffffffe0, v10
	v_sub_nc_u32_e32 v21, v11, v18
	v_ashrrev_i32_e32 v10, 5, v10
	s_delay_alu instid0(VALU_DEP_3) | instskip(NEXT) | instid1(VALU_DEP_3)
	v_sub_nc_u32_e32 v20, v2, v13
	v_cmp_lt_i32_e32 vcc_lo, 15, v21
	s_delay_alu instid0(VALU_DEP_2) | instskip(SKIP_1) | instid1(VALU_DEP_2)
	v_lshlrev_b32_e32 v2, 4, v20
	v_add_co_ci_u32_e64 v12, s13, 0, v12, vcc_lo
	v_lshl_add_u32 v2, v10, 9, v2
	s_delay_alu instid0(VALU_DEP_2) | instskip(NEXT) | instid1(VALU_DEP_2)
	v_sub_nc_u32_e32 v22, v12, v10
	v_sub_nc_u32_e32 v16, v11, v2
	s_delay_alu instid0(VALU_DEP_1)
	v_cmpx_lt_i32_e32 15, v16
	s_cbranch_execz .LBB6_742
; %bb.738:                              ;   in Loop: Header=BB6_569 Depth=2
	s_cbranch_execnz .LBB6_1882
; %bb.739:                              ;   in Loop: Header=BB6_569 Depth=2
	ds_load_b128 v[10:13], v0
	ds_load_b64 v[14:15], v0
	v_add_nc_u32_e32 v2, v2, v19
	s_cmp_lt_i32 s30, 0
	s_mov_b32 s4, 0
	s_cselect_b32 s17, -1, 0
	s_delay_alu instid0(VALU_DEP_1) | instskip(SKIP_2) | instid1(VALU_DEP_1)
	v_ashrrev_i32_e32 v17, 31, v2
	s_waitcnt lgkmcnt(1)
	v_add_co_u32 v10, s13, v10, v2
	v_add_co_ci_u32_e64 v11, s13, v11, v17, s13
	v_add_co_u32 v12, s13, v12, v2
	s_delay_alu instid0(VALU_DEP_1) | instskip(SKIP_2) | instid1(VALU_DEP_1)
	v_add_co_ci_u32_e64 v13, s13, v13, v17, s13
	s_waitcnt lgkmcnt(0)
	v_add_co_u32 v14, s13, v14, v2
	v_add_co_ci_u32_e64 v15, s13, v15, v17, s13
.LBB6_740:                              ;   Parent Loop BB6_55 Depth=1
                                        ;     Parent Loop BB6_569 Depth=2
                                        ; =>    This Inner Loop Header: Depth=3
	global_load_b128 v[23:26], v[10:11], off slc dlc
	global_load_b128 v[32:35], v[12:13], off slc dlc
	v_add_co_u32 v10, s13, v10, v166
	v_sub_nc_u32_e32 v16, v16, v151
	v_add_co_ci_u32_e64 v11, s13, v11, v167, s13
	v_add_co_u32 v12, s13, v12, v166
	s_delay_alu instid0(VALU_DEP_1) | instskip(NEXT) | instid1(VALU_DEP_4)
	v_add_co_ci_u32_e64 v13, s13, v13, v167, s13
	v_cmp_gt_i32_e64 s13, 16, v16
	v_sub_nc_u32_e32 v22, v22, v147
	s_waitcnt vmcnt(0)
	v_add_co_u32 v23, s14, v32, v23
	s_delay_alu instid0(VALU_DEP_1) | instskip(SKIP_1) | instid1(VALU_DEP_1)
	v_add_co_ci_u32_e64 v24, s14, v33, v24, s14
	v_add_co_u32 v25, s14, v34, v25
	v_add_co_ci_u32_e64 v26, s14, v35, v26, s14
	s_delay_alu instid0(VALU_DEP_3) | instskip(SKIP_1) | instid1(VALU_DEP_1)
	v_cmp_gt_i64_e64 s14, 0, v[23:24]
	v_sub_co_u32 v2, s15, 0, v23
	v_sub_co_ci_u32_e64 v17, s15, 0, v24, s15
	s_delay_alu instid0(VALU_DEP_4) | instskip(NEXT) | instid1(VALU_DEP_4)
	v_cmp_gt_i64_e64 s15, 0, v[25:26]
	s_and_b32 s14, s17, s14
	v_sub_co_u32 v32, s16, 0, v25
	v_cndmask_b32_e64 v37, v23, v2, s14
	v_cndmask_b32_e64 v17, v24, v17, s14
	v_sub_co_ci_u32_e64 v33, s16, 0, v26, s16
	s_and_b32 s15, s17, s15
	s_delay_alu instid0(VALU_DEP_3) | instskip(SKIP_1) | instid1(VALU_DEP_3)
	v_mul_hi_u32 v2, v37, v8
	v_cndmask_b32_e64 v38, v25, v32, s15
	v_cndmask_b32_e64 v34, v26, v33, s15
	s_or_b32 s4, s13, s4
	s_delay_alu instid0(VALU_DEP_3) | instskip(NEXT) | instid1(VALU_DEP_1)
	v_mad_u64_u32 v[23:24], null, v17, v8, v[2:3]
	v_dual_mov_b32 v27, v3 :: v_dual_mov_b32 v26, v24
	s_delay_alu instid0(VALU_DEP_2) | instskip(NEXT) | instid1(VALU_DEP_2)
	v_mov_b32_e32 v2, v23
	v_mad_u64_u32 v[32:33], null, v17, v9, v[26:27]
	s_delay_alu instid0(VALU_DEP_2) | instskip(SKIP_1) | instid1(VALU_DEP_2)
	v_mad_u64_u32 v[23:24], null, v37, v9, v[2:3]
	v_mul_hi_u32 v2, v38, v8
	v_dual_mov_b32 v36, v3 :: v_dual_mov_b32 v25, v24
	s_delay_alu instid0(VALU_DEP_2) | instskip(NEXT) | instid1(VALU_DEP_2)
	v_mad_u64_u32 v[23:24], null, v34, v8, v[2:3]
	v_add_co_u32 v39, s16, v32, v25
	s_delay_alu instid0(VALU_DEP_1) | instskip(NEXT) | instid1(VALU_DEP_3)
	v_add_co_ci_u32_e64 v48, s16, 0, v33, s16
	v_dual_mov_b32 v2, v23 :: v_dual_mov_b32 v35, v24
	s_delay_alu instid0(VALU_DEP_3) | instskip(NEXT) | instid1(VALU_DEP_2)
	v_mad_u64_u32 v[23:24], null, v39, s22, 0
	v_mad_u64_u32 v[25:26], null, v38, v9, v[2:3]
	s_delay_alu instid0(VALU_DEP_3) | instskip(NEXT) | instid1(VALU_DEP_3)
	v_mad_u64_u32 v[32:33], null, v34, v9, v[35:36]
	v_mov_b32_e32 v2, v24
	s_delay_alu instid0(VALU_DEP_1) | instskip(NEXT) | instid1(VALU_DEP_3)
	v_mad_u64_u32 v[24:25], null, v48, s22, v[2:3]
	v_add_co_u32 v32, s16, v32, v26
	s_delay_alu instid0(VALU_DEP_1) | instskip(SKIP_1) | instid1(VALU_DEP_4)
	v_add_co_ci_u32_e64 v33, s16, 0, v33, s16
	v_sub_co_u32 v26, s16, v37, v23
	v_mov_b32_e32 v2, v24
	s_delay_alu instid0(VALU_DEP_4) | instskip(NEXT) | instid1(VALU_DEP_2)
	v_mad_u64_u32 v[24:25], null, v32, s22, 0
	v_sub_co_ci_u32_e64 v27, s16, v17, v2, s16
	s_delay_alu instid0(VALU_DEP_2) | instskip(NEXT) | instid1(VALU_DEP_2)
	v_mov_b32_e32 v2, v25
	v_cmp_le_u64_e64 s16, s[22:23], v[26:27]
	s_delay_alu instid0(VALU_DEP_2) | instskip(NEXT) | instid1(VALU_DEP_2)
	v_mad_u64_u32 v[25:26], null, v33, s22, v[2:3]
	v_cndmask_b32_e64 v17, 0, 1, s16
	s_delay_alu instid0(VALU_DEP_1) | instskip(NEXT) | instid1(VALU_DEP_3)
	v_add_co_u32 v2, s16, v39, v17
	v_mov_b32_e32 v27, v25
	v_add_co_ci_u32_e64 v17, s16, 0, v48, s16
	s_delay_alu instid0(VALU_DEP_3) | instskip(NEXT) | instid1(VALU_DEP_1)
	v_sub_co_u32 v23, s16, 0, v2
	v_sub_co_ci_u32_e64 v26, s16, 0, v17, s16
	v_sub_co_u32 v25, s16, v38, v24
	s_delay_alu instid0(VALU_DEP_3) | instskip(NEXT) | instid1(VALU_DEP_3)
	v_cndmask_b32_e64 v23, v2, v23, s14
	v_cndmask_b32_e64 v24, v17, v26, s14
	v_sub_co_ci_u32_e64 v26, s14, v34, v27, s16
	s_delay_alu instid0(VALU_DEP_1) | instskip(NEXT) | instid1(VALU_DEP_1)
	v_cmp_le_u64_e64 s14, s[22:23], v[25:26]
	v_cndmask_b32_e64 v2, 0, 1, s14
	s_delay_alu instid0(VALU_DEP_1) | instskip(NEXT) | instid1(VALU_DEP_1)
	v_add_co_u32 v2, s14, v32, v2
	v_add_co_ci_u32_e64 v17, s14, 0, v33, s14
	s_delay_alu instid0(VALU_DEP_2) | instskip(NEXT) | instid1(VALU_DEP_1)
	v_sub_co_u32 v25, s14, 0, v2
	v_sub_co_ci_u32_e64 v26, s14, 0, v17, s14
	s_delay_alu instid0(VALU_DEP_2) | instskip(NEXT) | instid1(VALU_DEP_2)
	v_cndmask_b32_e64 v25, v2, v25, s15
	v_cndmask_b32_e64 v26, v17, v26, s15
	global_store_b128 v[14:15], v[23:26], off glc slc dlc
	v_add_co_u32 v14, s14, v14, v166
	s_delay_alu instid0(VALU_DEP_1)
	v_add_co_ci_u32_e64 v15, s14, v15, v167, s14
	s_and_not1_b32 exec_lo, exec_lo, s4
	s_cbranch_execnz .LBB6_740
; %bb.741:                              ;   in Loop: Header=BB6_569 Depth=2
	s_or_b32 exec_lo, exec_lo, s4
.LBB6_742:                              ;   in Loop: Header=BB6_569 Depth=2
	s_delay_alu instid0(SALU_CYCLE_1) | instskip(SKIP_3) | instid1(VALU_DEP_1)
	s_or_b32 exec_lo, exec_lo, s2
	v_and_b32_e32 v8, 8, v43
	s_mov_b32 s2, s31
	s_mov_b32 s4, exec_lo
                                        ; implicit-def: $vgpr16
                                        ; implicit-def: $vgpr17
                                        ; implicit-def: $vgpr2
	v_cndmask_b32_e32 v43, v21, v8, vcc_lo
	s_delay_alu instid0(VALU_DEP_1)
	v_cmpx_ne_u32_e32 0, v43
	s_cbranch_execz .LBB6_744
; %bb.743:                              ;   in Loop: Header=BB6_569 Depth=2
	v_cmp_lt_i32_e64 s13, 0, v22
	v_sub_nc_u32_e32 v8, v21, v8
	s_or_b32 s2, s31, exec_lo
	s_delay_alu instid0(VALU_DEP_2) | instskip(NEXT) | instid1(VALU_DEP_2)
	v_cndmask_b32_e64 v2, 0, v147, s13
	v_cndmask_b32_e32 v8, 0, v8, vcc_lo
	s_delay_alu instid0(VALU_DEP_2) | instskip(NEXT) | instid1(VALU_DEP_2)
	v_sub_nc_u32_e32 v2, v2, v22
	v_add3_u32 v16, v18, v19, v8
	s_delay_alu instid0(VALU_DEP_2) | instskip(NEXT) | instid1(VALU_DEP_1)
	v_lshl_add_u32 v9, v2, 5, v20
	v_ashrrev_i32_e32 v2, 31, v9
	s_delay_alu instid0(VALU_DEP_1) | instskip(NEXT) | instid1(VALU_DEP_1)
	v_lshrrev_b32_e32 v2, 27, v2
	v_add_nc_u32_e32 v2, v9, v2
	s_delay_alu instid0(VALU_DEP_1) | instskip(SKIP_1) | instid1(VALU_DEP_2)
	v_and_b32_e32 v10, 0xffffffe0, v2
	v_ashrrev_i32_e32 v2, 5, v2
	v_sub_nc_u32_e32 v17, v9, v10
.LBB6_744:                              ;   in Loop: Header=BB6_569 Depth=2
	s_or_b32 exec_lo, exec_lo, s4
	s_delay_alu instid0(SALU_CYCLE_1)
	s_and_not1_b32 s4, s31, exec_lo
	s_and_b32 s2, s2, exec_lo
	s_mov_b64 s[18:19], s[22:23]
	s_or_b32 s31, s4, s2
.LBB6_745:                              ;   in Loop: Header=BB6_569 Depth=2
	s_or_b32 exec_lo, exec_lo, s11
.LBB6_746:                              ;   in Loop: Header=BB6_569 Depth=2
	s_and_saveexec_b32 s20, s31
	s_cbranch_execz .LBB6_768
; %bb.747:                              ;   in Loop: Header=BB6_569 Depth=2
	v_mov_b32_e32 v8, -1
	v_mov_b32_e32 v9, -1
	s_cmp_lt_i32 s22, 1
	s_cbranch_scc1 .LBB6_752
; %bb.748:                              ;   in Loop: Header=BB6_569 Depth=2
	s_cmp_lg_u32 s22, 1
	s_cbranch_scc1 .LBB6_750
; %bb.749:                              ;   in Loop: Header=BB6_569 Depth=2
	s_mov_b32 s15, s25
	s_mov_b32 s14, s23
	s_mov_b64 s[16:17], 1
	s_branch .LBB6_751
.LBB6_750:                              ;   in Loop: Header=BB6_569 Depth=2
	s_mov_b64 s[16:17], 3
	s_mov_b64 s[14:15], 0
.LBB6_751:                              ;   in Loop: Header=BB6_569 Depth=2
	v_cmp_lt_u64_e64 s2, s[16:17], s[18:19]
	s_or_b32 s4, s15, 2.0
	s_delay_alu instid0(VALU_DEP_1)
	s_and_b32 s2, s2, exec_lo
	s_cselect_b32 s2, s15, s4
	s_cselect_b32 s4, 0, s18
	s_cselect_b32 s11, 0, s19
	s_sub_u32 s16, s16, s4
	s_subb_u32 s17, s17, s11
	s_or_b32 s11, s2, 0x20000000
	s_lshl_b64 s[16:17], s[16:17], 1
	s_delay_alu instid0(SALU_CYCLE_1) | instskip(NEXT) | instid1(SALU_CYCLE_1)
	s_or_b32 s16, s16, 1
	v_cmp_lt_u64_e64 s4, s[16:17], s[18:19]
	s_delay_alu instid0(VALU_DEP_1)
	s_and_b32 s4, s4, exec_lo
	s_cselect_b32 s4, 0, s18
	s_cselect_b32 s2, s2, s11
	s_cselect_b32 s11, 0, s19
	s_sub_u32 s16, s16, s4
	s_subb_u32 s17, s17, s11
	s_or_b32 s11, s2, 0x10000000
	s_lshl_b64 s[16:17], s[16:17], 1
	s_delay_alu instid0(SALU_CYCLE_1) | instskip(NEXT) | instid1(SALU_CYCLE_1)
	s_or_b32 s16, s16, 1
	v_cmp_lt_u64_e64 s4, s[16:17], s[18:19]
	;; [unrolled: 12-line block ×30, first 2 shown]
	s_delay_alu instid0(VALU_DEP_1)
	s_and_b32 s4, s4, exec_lo
	s_cselect_b32 s4, 0, s18
	s_cselect_b32 s2, s2, s11
	s_cselect_b32 s11, 0, s19
	s_sub_u32 s16, s16, s4
	s_subb_u32 s17, s17, s11
	s_or_b32 s11, s14, 0x80000000
	s_lshl_b64 s[16:17], s[16:17], 1
	v_mov_b32_e32 v9, s2
	s_or_b32 s16, s16, 1
	s_delay_alu instid0(SALU_CYCLE_1) | instskip(NEXT) | instid1(VALU_DEP_1)
	v_cmp_lt_u64_e64 s4, s[16:17], s[18:19]
	s_and_b32 s4, s4, exec_lo
	s_cselect_b32 s4, s14, s11
	s_cselect_b32 s11, 0, s18
	;; [unrolled: 1-line block ×3, first 2 shown]
	s_sub_u32 s14, s16, s11
	s_subb_u32 s15, s17, s13
	s_or_b32 s13, s4, 2.0
	s_lshl_b64 s[14:15], s[14:15], 1
	s_delay_alu instid0(SALU_CYCLE_1) | instskip(NEXT) | instid1(SALU_CYCLE_1)
	s_or_b32 s14, s14, 1
	v_cmp_lt_u64_e64 s11, s[14:15], s[18:19]
	s_delay_alu instid0(VALU_DEP_1)
	s_and_b32 s11, s11, exec_lo
	s_cselect_b32 s11, 0, s18
	s_cselect_b32 s4, s4, s13
	s_cselect_b32 s13, 0, s19
	s_sub_u32 s14, s14, s11
	s_subb_u32 s15, s15, s13
	s_or_b32 s13, s4, 0x20000000
	s_lshl_b64 s[14:15], s[14:15], 1
	s_delay_alu instid0(SALU_CYCLE_1) | instskip(NEXT) | instid1(SALU_CYCLE_1)
	s_or_b32 s14, s14, 1
	v_cmp_lt_u64_e64 s11, s[14:15], s[18:19]
	s_delay_alu instid0(VALU_DEP_1)
	s_and_b32 s11, s11, exec_lo
	s_cselect_b32 s11, 0, s18
	s_cselect_b32 s4, s4, s13
	s_cselect_b32 s13, 0, s19
	s_sub_u32 s14, s14, s11
	s_subb_u32 s15, s15, s13
	s_or_b32 s13, s4, 0x10000000
	;; [unrolled: 12-line block ×29, first 2 shown]
	s_lshl_b64 s[14:15], s[14:15], 1
	s_delay_alu instid0(SALU_CYCLE_1) | instskip(NEXT) | instid1(SALU_CYCLE_1)
	s_or_b32 s14, s14, 1
	v_cmp_lt_u64_e64 s11, s[14:15], s[18:19]
	s_delay_alu instid0(VALU_DEP_1)
	s_and_b32 s11, s11, exec_lo
	s_cselect_b32 s11, 0, s18
	s_cselect_b32 s4, s4, s13
	;; [unrolled: 1-line block ×3, first 2 shown]
	s_sub_u32 s14, s14, s11
	s_subb_u32 s15, s15, s13
	s_delay_alu instid0(SALU_CYCLE_1) | instskip(NEXT) | instid1(SALU_CYCLE_1)
	s_lshl_b64 s[14:15], s[14:15], 1
	s_or_b32 s14, s14, 1
	s_delay_alu instid0(SALU_CYCLE_1) | instskip(NEXT) | instid1(VALU_DEP_1)
	v_cmp_ge_u64_e64 s11, s[14:15], s[18:19]
	v_cndmask_b32_e64 v8, 0, 1, s11
	s_delay_alu instid0(VALU_DEP_1)
	v_or_b32_e32 v8, s4, v8
.LBB6_752:                              ;   in Loop: Header=BB6_569 Depth=2
	v_ashrrev_i32_e32 v10, 31, v43
	s_mov_b32 s2, exec_lo
	s_delay_alu instid0(VALU_DEP_1) | instskip(NEXT) | instid1(VALU_DEP_1)
	v_lshrrev_b32_e32 v10, 22, v10
	v_add_nc_u32_e32 v10, v43, v10
	s_delay_alu instid0(VALU_DEP_1) | instskip(NEXT) | instid1(VALU_DEP_1)
	v_ashrrev_i32_e32 v19, 10, v10
	v_sub_nc_u32_e32 v18, v19, v2
	s_delay_alu instid0(VALU_DEP_1)
	v_cmpx_lt_i32_e32 0, v18
	s_cbranch_execz .LBB6_757
; %bb.753:                              ;   in Loop: Header=BB6_569 Depth=2
	s_cbranch_execnz .LBB6_1828
; %bb.754:                              ;   in Loop: Header=BB6_569 Depth=2
	ds_load_b128 v[10:13], v0
	ds_load_b64 v[14:15], v0
	v_lshlrev_b32_e32 v2, 10, v2
	v_lshlrev_b32_e32 v20, 3, v17
	s_cmp_lt_i32 s30, 0
	s_mov_b32 s4, 0
	s_cselect_b32 s11, -1, 0
	s_delay_alu instid0(VALU_DEP_1) | instskip(NEXT) | instid1(VALU_DEP_1)
	v_add3_u32 v2, v16, v20, v2
	v_ashrrev_i32_e32 v20, 31, v2
	s_waitcnt lgkmcnt(1)
	v_add_co_u32 v10, vcc_lo, v10, v2
	s_delay_alu instid0(VALU_DEP_2)
	v_add_co_ci_u32_e32 v11, vcc_lo, v11, v20, vcc_lo
	v_add_co_u32 v12, vcc_lo, v12, v2
	v_add_co_ci_u32_e32 v13, vcc_lo, v13, v20, vcc_lo
	s_waitcnt lgkmcnt(0)
	v_add_co_u32 v14, vcc_lo, v14, v2
	v_add_co_ci_u32_e32 v15, vcc_lo, v15, v20, vcc_lo
.LBB6_755:                              ;   Parent Loop BB6_55 Depth=1
                                        ;     Parent Loop BB6_569 Depth=2
                                        ; =>    This Inner Loop Header: Depth=3
	flat_load_b64 v[20:21], v[12:13] slc dlc
	s_clause 0x1
	flat_load_b64 v[22:23], v[10:11] slc dlc
	flat_load_b64 v[24:25], v[10:11] offset:256 slc dlc
	s_clause 0x1
	flat_load_b64 v[26:27], v[12:13] offset:256 slc dlc
	flat_load_b64 v[32:33], v[12:13] offset:512 slc dlc
	s_clause 0x1
	flat_load_b64 v[34:35], v[10:11] offset:512 slc dlc
	flat_load_b64 v[36:37], v[10:11] offset:768 slc dlc
	;; [unrolled: 1-line block ×3, first 2 shown]
	v_mov_b32_e32 v118, v3
	v_add_co_u32 v10, vcc_lo, v10, v177
	v_sub_nc_u32_e32 v18, v18, v147
	v_add_co_ci_u32_e32 v11, vcc_lo, v11, v178, vcc_lo
	v_add_co_u32 v12, vcc_lo, v12, v177
	v_add_co_ci_u32_e32 v13, vcc_lo, v13, v178, vcc_lo
	s_delay_alu instid0(VALU_DEP_4) | instskip(SKIP_2) | instid1(VALU_DEP_1)
	v_cmp_gt_i32_e32 vcc_lo, 1, v18
	s_waitcnt vmcnt(6) lgkmcnt(6)
	v_add_co_u32 v20, s13, v20, v22
	v_add_co_ci_u32_e64 v21, s13, v21, v23, s13
	s_waitcnt vmcnt(4) lgkmcnt(4)
	v_add_co_u32 v22, s13, v26, v24
	s_delay_alu instid0(VALU_DEP_1) | instskip(SKIP_2) | instid1(VALU_DEP_1)
	v_add_co_ci_u32_e64 v23, s13, v27, v25, s13
	s_waitcnt vmcnt(2) lgkmcnt(2)
	v_add_co_u32 v24, s13, v32, v34
	v_add_co_ci_u32_e64 v25, s13, v33, v35, s13
	s_waitcnt vmcnt(0) lgkmcnt(0)
	v_add_co_u32 v26, s13, v38, v36
	s_delay_alu instid0(VALU_DEP_1) | instskip(SKIP_1) | instid1(VALU_DEP_1)
	v_add_co_ci_u32_e64 v27, s13, v39, v37, s13
	v_sub_co_u32 v35, s16, 0, v24
	v_sub_co_ci_u32_e64 v36, s16, 0, v25, s16
	v_cmp_gt_i64_e64 s13, 0, v[20:21]
	s_delay_alu instid0(VALU_DEP_4) | instskip(SKIP_4) | instid1(VALU_DEP_4)
	v_cmp_gt_i64_e64 s16, 0, v[26:27]
	v_sub_co_u32 v37, s17, 0, v26
	v_sub_co_u32 v2, s14, 0, v20
	v_sub_co_ci_u32_e64 v38, s17, 0, v27, s17
	s_and_b32 s13, s11, s13
	s_and_b32 s16, s11, s16
	v_sub_co_ci_u32_e64 v32, s14, 0, v21, s14
	s_delay_alu instid0(VALU_DEP_2) | instskip(SKIP_2) | instid1(VALU_DEP_4)
	v_cndmask_b32_e64 v38, v27, v38, s16
	v_cndmask_b32_e64 v27, v20, v2, s13
	v_cmp_gt_i64_e64 s14, 0, v[22:23]
	v_cndmask_b32_e64 v32, v21, v32, s13
	v_sub_co_u32 v33, s15, 0, v22
	s_delay_alu instid0(VALU_DEP_4) | instskip(SKIP_4) | instid1(VALU_DEP_3)
	v_mul_hi_u32 v2, v27, v8
	v_sub_co_ci_u32_e64 v34, s15, 0, v23, s15
	s_and_b32 s14, s11, s14
	v_cmp_gt_i64_e64 s15, 0, v[24:25]
	v_cndmask_b32_e64 v33, v22, v33, s14
	v_cndmask_b32_e64 v34, v23, v34, s14
	;; [unrolled: 1-line block ×3, first 2 shown]
	v_mad_u64_u32 v[20:21], null, v32, v8, v[2:3]
	v_mov_b32_e32 v49, v3
	v_mov_b32_e32 v51, v3
	s_and_b32 s15, s11, s15
	s_or_b32 s4, vcc_lo, s4
	v_cndmask_b32_e64 v35, v24, v35, s15
	v_cndmask_b32_e64 v36, v25, v36, s15
	v_mov_b32_e32 v48, v21
	v_mov_b32_e32 v2, v20
	s_delay_alu instid0(VALU_DEP_2) | instskip(NEXT) | instid1(VALU_DEP_2)
	v_mad_u64_u32 v[22:23], null, v32, v9, v[48:49]
	v_mad_u64_u32 v[20:21], null, v27, v9, v[2:3]
	v_mul_hi_u32 v2, v33, v8
	s_delay_alu instid0(VALU_DEP_2) | instskip(NEXT) | instid1(VALU_DEP_2)
	v_mov_b32_e32 v24, v21
	v_mad_u64_u32 v[20:21], null, v34, v8, v[2:3]
	v_mov_b32_e32 v50, v3
	s_delay_alu instid0(VALU_DEP_3) | instskip(NEXT) | instid1(VALU_DEP_1)
	v_add_co_u32 v26, s17, v22, v24
	v_add_co_ci_u32_e64 v39, s17, 0, v23, s17
	s_delay_alu instid0(VALU_DEP_4) | instskip(NEXT) | instid1(VALU_DEP_2)
	v_dual_mov_b32 v49, v21 :: v_dual_mov_b32 v2, v20
	v_mul_lo_u32 v48, v39, s18
	s_delay_alu instid0(VALU_DEP_4) | instskip(SKIP_1) | instid1(VALU_DEP_4)
	v_mul_lo_u32 v117, v26, s19
	v_mad_u64_u32 v[20:21], null, v26, s18, 0
	v_mad_u64_u32 v[22:23], null, v33, v9, v[2:3]
	;; [unrolled: 1-line block ×3, first 2 shown]
	v_mul_hi_u32 v2, v35, v8
	s_delay_alu instid0(VALU_DEP_4) | instskip(SKIP_2) | instid1(VALU_DEP_3)
	v_add3_u32 v21, v21, v117, v48
	v_sub_co_u32 v20, s17, v27, v20
	v_mov_b32_e32 v27, v23
	v_sub_co_ci_u32_e64 v21, s17, v32, v21, s17
	v_mad_u64_u32 v[22:23], null, v36, v8, v[2:3]
	s_delay_alu instid0(VALU_DEP_3) | instskip(NEXT) | instid1(VALU_DEP_1)
	v_add_co_u32 v32, s17, v24, v27
	v_add_co_ci_u32_e64 v48, s17, 0, v25, s17
	s_delay_alu instid0(VALU_DEP_4) | instskip(NEXT) | instid1(VALU_DEP_3)
	v_cmp_le_u64_e64 s17, s[18:19], v[20:21]
	v_mul_lo_u32 v49, v32, s19
	v_mov_b32_e32 v2, v22
	s_delay_alu instid0(VALU_DEP_4)
	v_mul_lo_u32 v27, v48, s18
	v_mad_u64_u32 v[20:21], null, v32, s18, 0
	v_cndmask_b32_e64 v24, 0, 1, s17
	v_mov_b32_e32 v50, v23
	v_mad_u64_u32 v[22:23], null, v35, v9, v[2:3]
	v_mul_hi_u32 v2, v37, v8
	s_delay_alu instid0(VALU_DEP_4) | instskip(NEXT) | instid1(VALU_DEP_1)
	v_add_co_u32 v26, s17, v26, v24
	v_add_co_ci_u32_e64 v39, s17, 0, v39, s17
	v_mad_u64_u32 v[24:25], null, v36, v9, v[50:51]
	s_delay_alu instid0(VALU_DEP_3) | instskip(NEXT) | instid1(VALU_DEP_1)
	v_sub_co_u32 v50, s17, 0, v26
	v_sub_co_ci_u32_e64 v51, s17, 0, v39, s17
	v_add3_u32 v21, v21, v49, v27
	v_sub_co_u32 v20, s17, v33, v20
	v_mov_b32_e32 v33, v23
	s_delay_alu instid0(VALU_DEP_4) | instskip(SKIP_2) | instid1(VALU_DEP_4)
	v_cndmask_b32_e64 v27, v39, v51, s13
	v_cndmask_b32_e64 v26, v26, v50, s13
	v_sub_co_ci_u32_e64 v21, s13, v34, v21, s17
	v_add_co_u32 v33, s13, v24, v33
	v_mad_u64_u32 v[22:23], null, v38, v8, v[2:3]
	v_add_co_ci_u32_e64 v34, s13, 0, v25, s13
	s_delay_alu instid0(VALU_DEP_4) | instskip(NEXT) | instid1(VALU_DEP_4)
	v_cmp_le_u64_e64 s13, s[18:19], v[20:21]
	v_mul_lo_u32 v49, v33, s19
	v_mad_u64_u32 v[20:21], null, v33, s18, 0
	v_dual_mov_b32 v117, v23 :: v_dual_mov_b32 v2, v22
	s_delay_alu instid0(VALU_DEP_4) | instskip(SKIP_1) | instid1(VALU_DEP_3)
	v_cndmask_b32_e64 v24, 0, 1, s13
	v_mul_lo_u32 v39, v34, s18
	v_mad_u64_u32 v[22:23], null, v37, v9, v[2:3]
	s_delay_alu instid0(VALU_DEP_3) | instskip(NEXT) | instid1(VALU_DEP_1)
	v_add_co_u32 v32, s13, v32, v24
	v_add_co_ci_u32_e64 v48, s13, 0, v48, s13
	v_mad_u64_u32 v[24:25], null, v38, v9, v[117:118]
	s_delay_alu instid0(VALU_DEP_3) | instskip(SKIP_1) | instid1(VALU_DEP_4)
	v_sub_co_u32 v2, s13, 0, v32
	v_add3_u32 v21, v21, v49, v39
	v_sub_co_ci_u32_e64 v22, s13, 0, v48, s13
	v_sub_co_u32 v20, s13, v35, v20
	v_mov_b32_e32 v35, v23
	s_delay_alu instid0(VALU_DEP_4) | instskip(NEXT) | instid1(VALU_DEP_4)
	v_sub_co_ci_u32_e64 v21, s13, v36, v21, s13
	v_cndmask_b32_e64 v23, v48, v22, s14
	v_cndmask_b32_e64 v22, v32, v2, s14
	s_delay_alu instid0(VALU_DEP_4)
	v_add_co_u32 v2, s13, v24, v35
	flat_store_b64 v[14:15], v[26:27] glc slc dlc
	v_add_co_ci_u32_e64 v26, s13, 0, v25, s13
	flat_store_b64 v[14:15], v[22:23] offset:256 glc slc dlc
	v_cmp_le_u64_e64 s13, s[18:19], v[20:21]
	v_mul_lo_u32 v27, v2, s19
	v_mul_lo_u32 v25, v26, s18
	v_mad_u64_u32 v[20:21], null, v2, s18, 0
	s_delay_alu instid0(VALU_DEP_4) | instskip(NEXT) | instid1(VALU_DEP_1)
	v_cndmask_b32_e64 v24, 0, 1, s13
	v_add_co_u32 v24, s13, v33, v24
	s_delay_alu instid0(VALU_DEP_1) | instskip(NEXT) | instid1(VALU_DEP_4)
	v_add_co_ci_u32_e64 v32, s13, 0, v34, s13
	v_add3_u32 v21, v21, v27, v25
	s_delay_alu instid0(VALU_DEP_3) | instskip(NEXT) | instid1(VALU_DEP_1)
	v_sub_co_u32 v33, s13, 0, v24
	v_sub_co_ci_u32_e64 v34, s13, 0, v32, s13
	v_sub_co_u32 v20, s13, v37, v20
	s_delay_alu instid0(VALU_DEP_1) | instskip(NEXT) | instid1(VALU_DEP_3)
	v_sub_co_ci_u32_e64 v21, s13, v38, v21, s13
	v_cndmask_b32_e64 v25, v32, v34, s15
	v_cndmask_b32_e64 v24, v24, v33, s15
	s_delay_alu instid0(VALU_DEP_3) | instskip(NEXT) | instid1(VALU_DEP_1)
	v_cmp_le_u64_e64 s13, s[18:19], v[20:21]
	v_cndmask_b32_e64 v20, 0, 1, s13
	s_delay_alu instid0(VALU_DEP_1) | instskip(NEXT) | instid1(VALU_DEP_1)
	v_add_co_u32 v2, s13, v2, v20
	v_add_co_ci_u32_e64 v20, s13, 0, v26, s13
	s_delay_alu instid0(VALU_DEP_2) | instskip(NEXT) | instid1(VALU_DEP_1)
	v_sub_co_u32 v22, s13, 0, v2
	v_sub_co_ci_u32_e64 v21, s13, 0, v20, s13
	s_delay_alu instid0(VALU_DEP_1) | instskip(NEXT) | instid1(VALU_DEP_3)
	v_cndmask_b32_e64 v21, v20, v21, s16
	v_cndmask_b32_e64 v20, v2, v22, s16
	s_clause 0x1
	flat_store_b64 v[14:15], v[24:25] offset:512 glc slc dlc
	flat_store_b64 v[14:15], v[20:21] offset:768 glc slc dlc
	v_add_co_u32 v14, s13, v14, v177
	s_delay_alu instid0(VALU_DEP_1)
	v_add_co_ci_u32_e64 v15, s13, v15, v178, s13
	s_and_not1_b32 exec_lo, exec_lo, s4
	s_cbranch_execnz .LBB6_755
; %bb.756:                              ;   in Loop: Header=BB6_569 Depth=2
	s_or_b32 exec_lo, exec_lo, s4
.LBB6_757:                              ;   in Loop: Header=BB6_569 Depth=2
	s_delay_alu instid0(SALU_CYCLE_1) | instskip(SKIP_2) | instid1(VALU_DEP_1)
	s_or_b32 exec_lo, exec_lo, s2
	v_lshlrev_b32_e32 v2, 10, v19
	s_mov_b32 s11, exec_lo
	v_cmpx_ne_u32_e64 v43, v2
	s_cbranch_execz .LBB6_767
; %bb.758:                              ;   in Loop: Header=BB6_569 Depth=2
	v_mov_b32_e32 v8, -1
	v_mov_b32_e32 v9, -1
	s_cmp_lt_i32 s22, 1
	s_cbranch_scc1 .LBB6_763
; %bb.759:                              ;   in Loop: Header=BB6_569 Depth=2
	s_cmp_lg_u32 s22, 1
	s_cbranch_scc1 .LBB6_761
; %bb.760:                              ;   in Loop: Header=BB6_569 Depth=2
	s_mov_b32 s15, s25
	s_mov_b32 s14, s23
	s_mov_b64 s[16:17], 1
	s_branch .LBB6_762
.LBB6_761:                              ;   in Loop: Header=BB6_569 Depth=2
	s_mov_b64 s[16:17], 3
	s_mov_b64 s[14:15], 0
.LBB6_762:                              ;   in Loop: Header=BB6_569 Depth=2
	v_cmp_lt_u64_e64 s2, s[16:17], s[18:19]
	s_or_b32 s4, s15, 2.0
	s_delay_alu instid0(VALU_DEP_1)
	s_and_b32 s2, s2, exec_lo
	s_cselect_b32 s2, s15, s4
	s_cselect_b32 s4, 0, s18
	s_cselect_b32 s13, 0, s19
	s_sub_u32 s16, s16, s4
	s_subb_u32 s17, s17, s13
	s_or_b32 s13, s2, 0x20000000
	s_lshl_b64 s[16:17], s[16:17], 1
	s_delay_alu instid0(SALU_CYCLE_1) | instskip(NEXT) | instid1(SALU_CYCLE_1)
	s_or_b32 s16, s16, 1
	v_cmp_lt_u64_e64 s4, s[16:17], s[18:19]
	s_delay_alu instid0(VALU_DEP_1)
	s_and_b32 s4, s4, exec_lo
	s_cselect_b32 s4, 0, s18
	s_cselect_b32 s2, s2, s13
	s_cselect_b32 s13, 0, s19
	s_sub_u32 s16, s16, s4
	s_subb_u32 s17, s17, s13
	s_or_b32 s13, s2, 0x10000000
	s_lshl_b64 s[16:17], s[16:17], 1
	s_delay_alu instid0(SALU_CYCLE_1) | instskip(NEXT) | instid1(SALU_CYCLE_1)
	s_or_b32 s16, s16, 1
	v_cmp_lt_u64_e64 s4, s[16:17], s[18:19]
	;; [unrolled: 12-line block ×30, first 2 shown]
	s_delay_alu instid0(VALU_DEP_1)
	s_and_b32 s4, s4, exec_lo
	s_cselect_b32 s4, 0, s18
	s_cselect_b32 s2, s2, s13
	;; [unrolled: 1-line block ×3, first 2 shown]
	s_sub_u32 s16, s16, s4
	s_subb_u32 s17, s17, s13
	s_or_b32 s13, s14, 0x80000000
	s_lshl_b64 s[16:17], s[16:17], 1
	v_mov_b32_e32 v9, s2
	s_or_b32 s16, s16, 1
	s_delay_alu instid0(SALU_CYCLE_1) | instskip(NEXT) | instid1(VALU_DEP_1)
	v_cmp_lt_u64_e64 s4, s[16:17], s[18:19]
	s_and_b32 s4, s4, exec_lo
	s_cselect_b32 s4, s14, s13
	s_cselect_b32 s13, 0, s18
	;; [unrolled: 1-line block ×3, first 2 shown]
	s_sub_u32 s14, s16, s13
	s_subb_u32 s15, s17, s15
	s_or_b32 s16, s4, 2.0
	s_lshl_b64 s[14:15], s[14:15], 1
	s_delay_alu instid0(SALU_CYCLE_1) | instskip(NEXT) | instid1(SALU_CYCLE_1)
	s_or_b32 s14, s14, 1
	v_cmp_lt_u64_e64 s13, s[14:15], s[18:19]
	s_delay_alu instid0(VALU_DEP_1)
	s_and_b32 s13, s13, exec_lo
	s_cselect_b32 s13, 0, s18
	s_cselect_b32 s4, s4, s16
	s_cselect_b32 s16, 0, s19
	s_sub_u32 s14, s14, s13
	s_subb_u32 s15, s15, s16
	s_or_b32 s16, s4, 0x20000000
	s_lshl_b64 s[14:15], s[14:15], 1
	s_delay_alu instid0(SALU_CYCLE_1) | instskip(NEXT) | instid1(SALU_CYCLE_1)
	s_or_b32 s14, s14, 1
	v_cmp_lt_u64_e64 s13, s[14:15], s[18:19]
	s_delay_alu instid0(VALU_DEP_1)
	s_and_b32 s13, s13, exec_lo
	s_cselect_b32 s13, 0, s18
	s_cselect_b32 s4, s4, s16
	s_cselect_b32 s16, 0, s19
	s_sub_u32 s14, s14, s13
	s_subb_u32 s15, s15, s16
	s_or_b32 s16, s4, 0x10000000
	;; [unrolled: 12-line block ×29, first 2 shown]
	s_lshl_b64 s[14:15], s[14:15], 1
	s_delay_alu instid0(SALU_CYCLE_1) | instskip(NEXT) | instid1(SALU_CYCLE_1)
	s_or_b32 s14, s14, 1
	v_cmp_lt_u64_e64 s13, s[14:15], s[18:19]
	s_delay_alu instid0(VALU_DEP_1)
	s_and_b32 s13, s13, exec_lo
	s_cselect_b32 s13, 0, s18
	s_cselect_b32 s4, s4, s16
	;; [unrolled: 1-line block ×3, first 2 shown]
	s_sub_u32 s14, s14, s13
	s_subb_u32 s15, s15, s16
	s_delay_alu instid0(SALU_CYCLE_1) | instskip(NEXT) | instid1(SALU_CYCLE_1)
	s_lshl_b64 s[14:15], s[14:15], 1
	s_or_b32 s14, s14, 1
	s_delay_alu instid0(SALU_CYCLE_1) | instskip(NEXT) | instid1(VALU_DEP_1)
	v_cmp_ge_u64_e64 s13, s[14:15], s[18:19]
	v_cndmask_b32_e64 v8, 0, 1, s13
	s_delay_alu instid0(VALU_DEP_1)
	v_or_b32_e32 v8, s4, v8
.LBB6_763:                              ;   in Loop: Header=BB6_569 Depth=2
	v_lshlrev_b32_e32 v10, 5, v18
	s_delay_alu instid0(VALU_DEP_1) | instskip(NEXT) | instid1(VALU_DEP_1)
	v_sub_nc_u32_e32 v10, v17, v10
	v_ashrrev_i32_e32 v11, 31, v10
	s_delay_alu instid0(VALU_DEP_1) | instskip(NEXT) | instid1(VALU_DEP_1)
	v_lshrrev_b32_e32 v11, 27, v11
	v_add_nc_u32_e32 v11, v10, v11
	s_delay_alu instid0(VALU_DEP_1) | instskip(SKIP_1) | instid1(VALU_DEP_2)
	v_and_b32_e32 v12, 0x1fffffe0, v11
	v_lshlrev_b32_e32 v11, 3, v11
	v_sub_nc_u32_e32 v10, v10, v12
	s_delay_alu instid0(VALU_DEP_2) | instskip(NEXT) | instid1(VALU_DEP_1)
	v_and_b32_e32 v11, 0xffffff00, v11
	v_lshl_add_u32 v10, v10, 3, v11
	s_delay_alu instid0(VALU_DEP_1) | instskip(NEXT) | instid1(VALU_DEP_1)
	v_add_nc_u32_e32 v11, v2, v10
	v_sub_nc_u32_e32 v17, v43, v11
	s_delay_alu instid0(VALU_DEP_1)
	v_cmp_lt_i32_e32 vcc_lo, 7, v17
	s_and_b32 exec_lo, exec_lo, vcc_lo
	s_cbranch_execz .LBB6_767
; %bb.764:                              ;   in Loop: Header=BB6_569 Depth=2
	s_cbranch_execnz .LBB6_1890
; %bb.765:                              ;   in Loop: Header=BB6_569 Depth=2
	ds_load_b128 v[11:14], v0
	ds_load_b64 v[18:19], v0
	v_add3_u32 v2, v2, v16, v10
	s_cmp_lt_i32 s30, 0
	s_mov_b32 s2, 0
	s_cselect_b32 s4, -1, 0
	s_delay_alu instid0(VALU_DEP_1) | instskip(SKIP_2) | instid1(VALU_DEP_2)
	v_ashrrev_i32_e32 v15, 31, v2
	s_waitcnt lgkmcnt(1)
	v_add_co_u32 v10, vcc_lo, v11, v2
	v_add_co_ci_u32_e32 v11, vcc_lo, v12, v15, vcc_lo
	v_add_co_u32 v12, vcc_lo, v13, v2
	v_add_co_ci_u32_e32 v13, vcc_lo, v14, v15, vcc_lo
	s_waitcnt lgkmcnt(0)
	v_add_co_u32 v14, vcc_lo, v18, v2
	v_add_co_ci_u32_e32 v15, vcc_lo, v19, v15, vcc_lo
.LBB6_766:                              ;   Parent Loop BB6_55 Depth=1
                                        ;     Parent Loop BB6_569 Depth=2
                                        ; =>    This Inner Loop Header: Depth=3
	flat_load_b64 v[18:19], v[10:11] slc dlc
	flat_load_b64 v[20:21], v[12:13] slc dlc
	v_mov_b32_e32 v22, v3
	v_add_co_u32 v10, vcc_lo, v10, v180
	v_sub_nc_u32_e32 v17, v17, v165
	v_add_co_ci_u32_e32 v11, vcc_lo, v11, v181, vcc_lo
	v_add_co_u32 v12, vcc_lo, v12, v180
	v_add_co_ci_u32_e32 v13, vcc_lo, v13, v181, vcc_lo
	s_delay_alu instid0(VALU_DEP_4) | instskip(SKIP_2) | instid1(VALU_DEP_1)
	v_cmp_gt_i32_e32 vcc_lo, 8, v17
	s_waitcnt vmcnt(0) lgkmcnt(0)
	v_add_co_u32 v18, s13, v20, v18
	v_add_co_ci_u32_e64 v19, s13, v21, v19, s13
	s_delay_alu instid0(VALU_DEP_2) | instskip(NEXT) | instid1(VALU_DEP_2)
	v_sub_co_u32 v2, s14, 0, v18
	v_cmp_gt_i64_e64 s13, 0, v[18:19]
	v_sub_co_ci_u32_e64 v16, s14, 0, v19, s14
	s_delay_alu instid0(VALU_DEP_2) | instskip(SKIP_2) | instid1(VALU_DEP_2)
	s_and_b32 s13, s4, s13
	s_or_b32 s2, vcc_lo, s2
	v_cndmask_b32_e64 v20, v18, v2, s13
	v_cndmask_b32_e64 v16, v19, v16, s13
	s_delay_alu instid0(VALU_DEP_2) | instskip(NEXT) | instid1(VALU_DEP_1)
	v_mul_hi_u32 v2, v20, v8
	v_mad_u64_u32 v[18:19], null, v16, v8, v[2:3]
	s_delay_alu instid0(VALU_DEP_1) | instskip(NEXT) | instid1(VALU_DEP_1)
	v_dual_mov_b32 v2, v18 :: v_dual_mov_b32 v21, v19
	v_mad_u64_u32 v[18:19], null, v20, v9, v[2:3]
	s_delay_alu instid0(VALU_DEP_2) | instskip(NEXT) | instid1(VALU_DEP_2)
	v_mad_u64_u32 v[23:24], null, v16, v9, v[21:22]
	v_mov_b32_e32 v2, v19
	s_delay_alu instid0(VALU_DEP_1) | instskip(NEXT) | instid1(VALU_DEP_1)
	v_add_co_u32 v2, s14, v23, v2
	v_add_co_ci_u32_e64 v21, s14, 0, v24, s14
	s_delay_alu instid0(VALU_DEP_2) | instskip(SKIP_1) | instid1(VALU_DEP_3)
	v_mul_lo_u32 v23, v2, s19
	v_mad_u64_u32 v[18:19], null, v2, s18, 0
	v_mul_lo_u32 v22, v21, s18
	s_delay_alu instid0(VALU_DEP_2) | instskip(NEXT) | instid1(VALU_DEP_2)
	v_sub_co_u32 v18, s14, v20, v18
	v_add3_u32 v19, v19, v23, v22
	s_delay_alu instid0(VALU_DEP_1) | instskip(NEXT) | instid1(VALU_DEP_1)
	v_sub_co_ci_u32_e64 v19, s14, v16, v19, s14
	v_cmp_le_u64_e64 s14, s[18:19], v[18:19]
	s_delay_alu instid0(VALU_DEP_1) | instskip(NEXT) | instid1(VALU_DEP_1)
	v_cndmask_b32_e64 v16, 0, 1, s14
	v_add_co_u32 v2, s14, v2, v16
	s_delay_alu instid0(VALU_DEP_1) | instskip(NEXT) | instid1(VALU_DEP_2)
	v_add_co_ci_u32_e64 v16, s14, 0, v21, s14
	v_sub_co_u32 v18, s14, 0, v2
	s_delay_alu instid0(VALU_DEP_1) | instskip(NEXT) | instid1(VALU_DEP_2)
	v_sub_co_ci_u32_e64 v19, s14, 0, v16, s14
	v_cndmask_b32_e64 v18, v2, v18, s13
	s_delay_alu instid0(VALU_DEP_2) | instskip(SKIP_2) | instid1(VALU_DEP_1)
	v_cndmask_b32_e64 v19, v16, v19, s13
	flat_store_b64 v[14:15], v[18:19] glc slc dlc
	v_add_co_u32 v14, s13, v14, v180
	v_add_co_ci_u32_e64 v15, s13, v15, v181, s13
	s_and_not1_b32 exec_lo, exec_lo, s2
	s_cbranch_execnz .LBB6_766
.LBB6_767:                              ;   in Loop: Header=BB6_569 Depth=2
	s_or_b32 exec_lo, exec_lo, s11
.LBB6_768:                              ;   in Loop: Header=BB6_569 Depth=2
	s_delay_alu instid0(SALU_CYCLE_1)
	s_or_b32 exec_lo, exec_lo, s20
.LBB6_769:                              ;   in Loop: Header=BB6_569 Depth=2
	s_and_saveexec_b32 s2, s3
	s_cbranch_execz .LBB6_791
; %bb.770:                              ;   in Loop: Header=BB6_569 Depth=2
	s_and_saveexec_b32 s4, s41
	s_delay_alu instid0(SALU_CYCLE_1)
	s_xor_b32 s4, exec_lo, s4
	s_cbranch_execz .LBB6_788
; %bb.771:                              ;   in Loop: Header=BB6_569 Depth=2
	s_and_saveexec_b32 s11, s1
	s_cbranch_execz .LBB6_787
; %bb.772:                              ;   in Loop: Header=BB6_569 Depth=2
	s_mov_b32 s14, exec_lo
	s_mov_b32 s13, exec_lo
	v_mbcnt_lo_u32_b32 v2, s14, 0
	s_waitcnt lgkmcnt(0)
	s_waitcnt_vscnt null, 0x0
	buffer_gl1_inv
	buffer_gl0_inv
	v_cmpx_eq_u32_e32 0, v2
	s_cbranch_execz .LBB6_774
; %bb.773:                              ;   in Loop: Header=BB6_569 Depth=2
	s_bcnt1_i32_b32 s14, s14
	s_delay_alu instid0(SALU_CYCLE_1)
	v_mov_b32_e32 v2, s14
	ds_add_u64 v0, v[2:3]
	s_cbranch_execnz .LBB6_1792
.LBB6_774:                              ;   in Loop: Header=BB6_569 Depth=2
	s_or_b32 exec_lo, exec_lo, s13
	s_cbranch_execnz .LBB6_1766
; %bb.775:                              ;   in Loop: Header=BB6_569 Depth=2
	ds_load_b64 v[8:9], v0
	v_add_co_u32 v80, vcc_lo, v80, v147
	v_add_co_ci_u32_e32 v81, vcc_lo, 0, v81, vcc_lo
	s_mov_b32 s13, exec_lo
	s_waitcnt lgkmcnt(0)
	s_delay_alu instid0(VALU_DEP_1)
	v_cmpx_lt_u64_e64 v[8:9], v[80:81]
	s_cbranch_execz .LBB6_786
; %bb.776:                              ;   in Loop: Header=BB6_569 Depth=2
	s_mov_b32 s14, 0
	s_mov_b32 s17, 0
                                        ; implicit-def: $sgpr15
                                        ; implicit-def: $sgpr16
	s_branch .LBB6_778
.LBB6_777:                              ;   in Loop: Header=BB6_778 Depth=3
	s_or_b32 exec_lo, exec_lo, s20
	s_delay_alu instid0(SALU_CYCLE_1) | instskip(NEXT) | instid1(SALU_CYCLE_1)
	s_and_b32 s18, exec_lo, s19
	s_or_b32 s14, s18, s14
	s_and_not1_b32 s15, s15, exec_lo
	s_and_b32 s18, s16, exec_lo
	s_delay_alu instid0(SALU_CYCLE_1)
	s_or_b32 s15, s15, s18
	s_and_not1_b32 exec_lo, exec_lo, s14
	s_cbranch_execz .LBB6_784
.LBB6_778:                              ;   Parent Loop BB6_55 Depth=1
                                        ;     Parent Loop BB6_569 Depth=2
                                        ; =>    This Inner Loop Header: Depth=3
	s_add_i32 s17, s17, 1
                                        ; implicit-def: $sgpr19
	s_delay_alu instid0(SALU_CYCLE_1) | instskip(SKIP_1) | instid1(SALU_CYCLE_1)
	s_cmpk_lg_i32 s17, 0x2710
	s_cselect_b32 s18, -1, 0
	s_and_b32 vcc_lo, exec_lo, s18
	s_cbranch_vccz .LBB6_782
.LBB6_779:                              ;   in Loop: Header=BB6_778 Depth=3
	s_and_not1_b32 s16, s16, exec_lo
	s_and_b32 s20, s19, exec_lo
	s_mov_b32 s19, -1
	s_or_b32 s16, s16, s20
	s_and_saveexec_b32 s20, s18
	s_cbranch_execz .LBB6_777
; %bb.780:                              ;   in Loop: Header=BB6_778 Depth=3
	s_sleep 1
	s_cbranch_execnz .LBB6_1846
; %bb.781:                              ;   in Loop: Header=BB6_778 Depth=3
	ds_load_b64 v[8:9], v0
	s_and_not1_b32 s16, s16, exec_lo
	s_waitcnt lgkmcnt(0)
	v_cmp_ge_u64_e32 vcc_lo, v[8:9], v[80:81]
	s_or_not1_b32 s19, vcc_lo, exec_lo
	s_branch .LBB6_777
.LBB6_782:                              ;   in Loop: Header=BB6_778 Depth=3
	s_cbranch_execnz .LBB6_1864
; %bb.783:                              ;   in Loop: Header=BB6_778 Depth=3
	ds_load_b64 v[8:9], v0
	s_and_not1_b32 s18, s18, exec_lo
	s_mov_b32 s17, 0
	s_mov_b32 s19, -1
	s_waitcnt lgkmcnt(0)
	flat_load_b32 v2, v[8:9] glc
	s_waitcnt vmcnt(0) lgkmcnt(0)
	buffer_gl1_inv
	buffer_gl0_inv
	v_cmp_eq_u32_e32 vcc_lo, 0, v2
	s_and_b32 s20, vcc_lo, exec_lo
	s_delay_alu instid0(SALU_CYCLE_1)
	s_or_b32 s18, s18, s20
	s_branch .LBB6_779
.LBB6_784:                              ;   in Loop: Header=BB6_569 Depth=2
	s_or_b32 exec_lo, exec_lo, s14
	s_and_saveexec_b32 s14, s15
	s_delay_alu instid0(SALU_CYCLE_1)
	s_xor_b32 s14, exec_lo, s14
	s_cbranch_execz .LBB6_786
; %bb.785:                              ;   in Loop: Header=BB6_569 Depth=2
	ds_store_b32 v0, v41
	s_cbranch_execnz .LBB6_1968
.LBB6_786:                              ;   in Loop: Header=BB6_569 Depth=2
	s_or_b32 exec_lo, exec_lo, s13
	;;#ASMSTART
	s_wakeup
	;;#ASMEND
.LBB6_787:                              ;   in Loop: Header=BB6_569 Depth=2
	s_or_b32 exec_lo, exec_lo, s11
.LBB6_788:                              ;   in Loop: Header=BB6_569 Depth=2
	s_and_not1_saveexec_b32 s4, s4
	s_cbranch_execz .LBB6_790
; %bb.789:                              ;   in Loop: Header=BB6_569 Depth=2
	s_waitcnt lgkmcnt(0)
	s_waitcnt_vscnt null, 0x0
	buffer_gl1_inv
	buffer_gl0_inv
	s_barrier
.LBB6_790:                              ;   in Loop: Header=BB6_569 Depth=2
	s_or_b32 exec_lo, exec_lo, s4
.LBB6_791:                              ;   in Loop: Header=BB6_569 Depth=2
	s_delay_alu instid0(SALU_CYCLE_1) | instskip(SKIP_1) | instid1(SALU_CYCLE_1)
	s_or_b32 exec_lo, exec_lo, s2
                                        ; implicit-def: $vgpr2
	s_and_saveexec_b32 s2, s7
	s_xor_b32 s2, exec_lo, s2
	s_cbranch_execz .LBB6_795
; %bb.792:                              ;   in Loop: Header=BB6_569 Depth=2
	v_and_b32_e32 v2, 16, v30
	v_cmp_lt_i32_e32 vcc_lo, 0, v113
	s_delay_alu instid0(VALU_DEP_2) | instskip(SKIP_1) | instid1(VALU_DEP_2)
	v_cmp_ne_u32_e64 s13, 0, v2
	v_and_b32_e32 v2, 16, v30
	s_and_b32 s11, s13, vcc_lo
	s_delay_alu instid0(SALU_CYCLE_1)
	s_and_saveexec_b32 s4, s11
	s_cbranch_execz .LBB6_794
; %bb.793:                              ;   in Loop: Header=BB6_569 Depth=2
	v_mov_b32_e32 v2, 1
	s_waitcnt lgkmcnt(0)
	s_waitcnt_vscnt null, 0x0
	buffer_gl1_inv
	buffer_gl0_inv
.LBB6_794:                              ;   in Loop: Header=BB6_569 Depth=2
	s_or_b32 exec_lo, exec_lo, s4
.LBB6_795:                              ;   in Loop: Header=BB6_569 Depth=2
	s_and_not1_saveexec_b32 s2, s2
	s_cbranch_execz .LBB6_817
; %bb.796:                              ;   in Loop: Header=BB6_569 Depth=2
	s_and_saveexec_b32 s4, s41
	s_delay_alu instid0(SALU_CYCLE_1)
	s_xor_b32 s4, exec_lo, s4
	s_cbranch_execz .LBB6_814
; %bb.797:                              ;   in Loop: Header=BB6_569 Depth=2
	s_and_saveexec_b32 s11, s1
	s_cbranch_execz .LBB6_813
; %bb.798:                              ;   in Loop: Header=BB6_569 Depth=2
	s_mov_b32 s14, exec_lo
	s_mov_b32 s13, exec_lo
	v_mbcnt_lo_u32_b32 v2, s14, 0
	;;#ASMSTART
	s_waitcnt lgkmcnt(0) vmcnt(0)
	;;#ASMEND
	s_delay_alu instid0(VALU_DEP_1)
	v_cmpx_eq_u32_e32 0, v2
	s_cbranch_execz .LBB6_800
; %bb.799:                              ;   in Loop: Header=BB6_569 Depth=2
	s_bcnt1_i32_b32 s14, s14
	s_delay_alu instid0(SALU_CYCLE_1)
	v_mov_b32_e32 v2, s14
	ds_add_u64 v0, v[2:3]
	s_cbranch_execnz .LBB6_1796
.LBB6_800:                              ;   in Loop: Header=BB6_569 Depth=2
	s_or_b32 exec_lo, exec_lo, s13
	s_cbranch_execnz .LBB6_1770
; %bb.801:                              ;   in Loop: Header=BB6_569 Depth=2
	ds_load_b64 v[8:9], v0
	v_add_co_u32 v80, vcc_lo, v80, v147
	v_add_co_ci_u32_e32 v81, vcc_lo, 0, v81, vcc_lo
	s_mov_b32 s13, exec_lo
	s_waitcnt lgkmcnt(0)
	s_delay_alu instid0(VALU_DEP_1)
	v_cmpx_lt_u64_e64 v[8:9], v[80:81]
	s_cbranch_execz .LBB6_812
; %bb.802:                              ;   in Loop: Header=BB6_569 Depth=2
	s_mov_b32 s14, 0
	s_mov_b32 s17, 0
                                        ; implicit-def: $sgpr15
                                        ; implicit-def: $sgpr16
	s_branch .LBB6_804
.LBB6_803:                              ;   in Loop: Header=BB6_804 Depth=3
	s_or_b32 exec_lo, exec_lo, s20
	s_delay_alu instid0(SALU_CYCLE_1) | instskip(NEXT) | instid1(SALU_CYCLE_1)
	s_and_b32 s18, exec_lo, s19
	s_or_b32 s14, s18, s14
	s_and_not1_b32 s15, s15, exec_lo
	s_and_b32 s18, s16, exec_lo
	s_delay_alu instid0(SALU_CYCLE_1)
	s_or_b32 s15, s15, s18
	s_and_not1_b32 exec_lo, exec_lo, s14
	s_cbranch_execz .LBB6_810
.LBB6_804:                              ;   Parent Loop BB6_55 Depth=1
                                        ;     Parent Loop BB6_569 Depth=2
                                        ; =>    This Inner Loop Header: Depth=3
	s_add_i32 s17, s17, 1
                                        ; implicit-def: $sgpr19
	s_delay_alu instid0(SALU_CYCLE_1) | instskip(SKIP_1) | instid1(SALU_CYCLE_1)
	s_cmpk_lg_i32 s17, 0x2710
	s_cselect_b32 s18, -1, 0
	s_and_b32 vcc_lo, exec_lo, s18
	s_cbranch_vccz .LBB6_808
.LBB6_805:                              ;   in Loop: Header=BB6_804 Depth=3
	s_and_not1_b32 s16, s16, exec_lo
	s_and_b32 s20, s19, exec_lo
	s_mov_b32 s19, -1
	s_or_b32 s16, s16, s20
	s_and_saveexec_b32 s20, s18
	s_cbranch_execz .LBB6_803
; %bb.806:                              ;   in Loop: Header=BB6_804 Depth=3
	s_sleep 1
	s_cbranch_execnz .LBB6_1852
; %bb.807:                              ;   in Loop: Header=BB6_804 Depth=3
	ds_load_b64 v[8:9], v0
	s_and_not1_b32 s16, s16, exec_lo
	s_waitcnt lgkmcnt(0)
	v_cmp_ge_u64_e32 vcc_lo, v[8:9], v[80:81]
	s_or_not1_b32 s19, vcc_lo, exec_lo
	s_branch .LBB6_803
.LBB6_808:                              ;   in Loop: Header=BB6_804 Depth=3
	s_cbranch_execnz .LBB6_1870
; %bb.809:                              ;   in Loop: Header=BB6_804 Depth=3
	ds_load_b64 v[8:9], v0
	s_and_not1_b32 s18, s18, exec_lo
	s_mov_b32 s17, 0
	s_mov_b32 s19, -1
	s_waitcnt lgkmcnt(0)
	s_waitcnt_vscnt null, 0x0
	flat_load_b32 v2, v[8:9] glc
	s_waitcnt vmcnt(0) lgkmcnt(0)
	buffer_gl1_inv
	buffer_gl0_inv
	v_cmp_eq_u32_e32 vcc_lo, 0, v2
	s_and_b32 s20, vcc_lo, exec_lo
	s_delay_alu instid0(SALU_CYCLE_1)
	s_or_b32 s18, s18, s20
	s_branch .LBB6_805
.LBB6_810:                              ;   in Loop: Header=BB6_569 Depth=2
	s_or_b32 exec_lo, exec_lo, s14
	s_and_saveexec_b32 s14, s15
	s_delay_alu instid0(SALU_CYCLE_1)
	s_xor_b32 s14, exec_lo, s14
	s_cbranch_execz .LBB6_812
; %bb.811:                              ;   in Loop: Header=BB6_569 Depth=2
	ds_store_b32 v0, v41
	s_cbranch_execnz .LBB6_1970
.LBB6_812:                              ;   in Loop: Header=BB6_569 Depth=2
	s_or_b32 exec_lo, exec_lo, s13
	;;#ASMSTART
	s_wakeup
	;;#ASMEND
.LBB6_813:                              ;   in Loop: Header=BB6_569 Depth=2
	s_or_b32 exec_lo, exec_lo, s11
.LBB6_814:                              ;   in Loop: Header=BB6_569 Depth=2
	s_and_not1_saveexec_b32 s4, s4
	s_cbranch_execz .LBB6_816
; %bb.815:                              ;   in Loop: Header=BB6_569 Depth=2
	;;#ASMSTART
	s_waitcnt lgkmcnt(0) vmcnt(0)
	;;#ASMEND
	s_waitcnt lgkmcnt(0)
	s_waitcnt_vscnt null, 0x0
	s_barrier
.LBB6_816:                              ;   in Loop: Header=BB6_569 Depth=2
	s_or_b32 exec_lo, exec_lo, s4
	v_and_b32_e32 v2, 16, v30
.LBB6_817:                              ;   in Loop: Header=BB6_569 Depth=2
	s_or_b32 exec_lo, exec_lo, s2
	s_delay_alu instid0(VALU_DEP_1) | instskip(SKIP_1) | instid1(SALU_CYCLE_1)
	v_cmp_ne_u32_e32 vcc_lo, 0, v2
	s_xor_b32 s2, s10, -1
	s_and_b32 s4, vcc_lo, s2
	s_delay_alu instid0(SALU_CYCLE_1)
	s_and_saveexec_b32 s2, s4
	s_cbranch_execz .LBB6_819
; %bb.818:                              ;   in Loop: Header=BB6_569 Depth=2
	s_waitcnt lgkmcnt(0)
	s_waitcnt_vscnt null, 0x0
	flat_store_b32 v[70:71], v41
.LBB6_819:                              ;   in Loop: Header=BB6_569 Depth=2
	s_or_b32 exec_lo, exec_lo, s2
	v_and_b32_e32 v2, 48, v30
	s_mov_b32 s2, exec_lo
	s_delay_alu instid0(VALU_DEP_1)
	v_cmpx_ne_u32_e32 0, v2
	s_cbranch_execz .LBB6_821
; %bb.820:                              ;   in Loop: Header=BB6_569 Depth=2
	v_add_co_u32 v66, vcc_lo, v66, 2
	v_add_co_ci_u32_e32 v67, vcc_lo, 0, v67, vcc_lo
	s_waitcnt lgkmcnt(0)
	s_waitcnt_vscnt null, 0x0
	flat_store_b64 v[64:65], v[66:67]
.LBB6_821:                              ;   in Loop: Header=BB6_569 Depth=2
	s_or_b32 exec_lo, exec_lo, s2
	v_add_nc_u32_e32 v112, v102, v112
	v_readlane_b32 s2, v74, 4
	v_readlane_b32 s17, v74, 6
	;; [unrolled: 1-line block ×4, first 2 shown]
	v_cmp_ge_i32_e32 vcc_lo, v112, v103
	s_xor_b32 s2, s2, -1
	v_readlane_b32 s30, v74, 9
	v_readlane_b32 s31, v74, 11
	;; [unrolled: 1-line block ×3, first 2 shown]
	s_or_b32 s2, s2, vcc_lo
	v_readlane_b32 s34, v74, 12
	s_and_b32 s4, exec_lo, s2
	v_readlane_b32 s2, v74, 5
	v_readlane_b32 s21, v74, 13
	;; [unrolled: 1-line block ×5, first 2 shown]
	v_mov_b32_e32 v2, s2
	v_readlane_b32 s2, v74, 3
	v_readlane_b32 s36, v74, 17
	;; [unrolled: 1-line block ×4, first 2 shown]
	s_or_b32 s17, s4, s17
	s_mov_b32 s40, 0
	s_mov_b32 s13, 2
	;; [unrolled: 1-line block ×7, first 2 shown]
	s_and_not1_b32 exec_lo, exec_lo, s17
	s_cbranch_execnz .LBB6_569
; %bb.822:                              ;   in Loop: Header=BB6_55 Depth=1
	s_or_b32 exec_lo, exec_lo, s17
	v_readlane_b32 s2, v74, 2
.LBB6_823:                              ;   in Loop: Header=BB6_55 Depth=1
	s_delay_alu instid0(VALU_DEP_1)
	s_or_b32 exec_lo, exec_lo, s2
	s_mov_b32 s15, s25
	s_mov_b32 s25, s11
	s_mov_b32 s11, exec_lo
	v_cmpx_gt_i32_e32 2, v2
	s_cbranch_execz .LBB6_909
; %bb.824:                              ;   in Loop: Header=BB6_55 Depth=1
	v_cmp_eq_u32_e64 s2, 0, v2
	s_mov_b32 s17, s5
	s_mov_b32 s12, s6
	;; [unrolled: 1-line block ×5, first 2 shown]
.LBB6_825:                              ;   Parent Loop BB6_55 Depth=1
                                        ; =>  This Loop Header: Depth=2
                                        ;       Child Loop BB6_831 Depth 3
                                        ;       Child Loop BB6_863 Depth 3
	;; [unrolled: 1-line block ×3, first 2 shown]
	v_and_b32_e32 v2, 12, v30
	s_mov_b32 s13, -1
	s_mov_b32 s4, exec_lo
	s_delay_alu instid0(VALU_DEP_1)
	v_cmpx_ne_u32_e32 0, v2
	s_cbranch_execz .LBB6_839
; %bb.826:                              ;   in Loop: Header=BB6_825 Depth=2
	v_and_b32_e32 v2, 8, v30
	s_delay_alu instid0(VALU_DEP_1) | instskip(SKIP_3) | instid1(VALU_DEP_1)
	v_add_co_u32 v10, vcc_lo, v82, v2
	v_add_co_ci_u32_e32 v11, vcc_lo, 0, v83, vcc_lo
	v_add_co_u32 v8, vcc_lo, v66, 2
	v_add_co_ci_u32_e32 v9, vcc_lo, 0, v67, vcc_lo
	v_cmp_lt_u64_e32 vcc_lo, v[10:11], v[8:9]
	v_mov_b32_e32 v10, 1
	s_and_saveexec_b32 s13, vcc_lo
	s_cbranch_execz .LBB6_838
; %bb.827:                              ;   in Loop: Header=BB6_825 Depth=2
	v_mov_b32_e32 v10, 0
	s_mov_b32 s37, 0
                                        ; implicit-def: $sgpr38
	s_branch .LBB6_831
.LBB6_828:                              ;   in Loop: Header=BB6_831 Depth=3
	s_or_b32 exec_lo, exec_lo, s43
	v_mov_b32_e32 v11, 0
	s_or_not1_b32 s42, s42, exec_lo
.LBB6_829:                              ;   in Loop: Header=BB6_831 Depth=3
	s_or_b32 exec_lo, exec_lo, s40
	s_delay_alu instid0(VALU_DEP_1) | instskip(SKIP_2) | instid1(SALU_CYCLE_1)
	v_mov_b32_e32 v10, v11
	s_and_not1_b32 vcc_lo, s38, exec_lo
	s_and_b32 s38, s42, exec_lo
	s_or_b32 s38, vcc_lo, s38
.LBB6_830:                              ;   in Loop: Header=BB6_831 Depth=3
	s_or_b32 exec_lo, exec_lo, s39
	s_waitcnt vmcnt(0) lgkmcnt(0)
	v_add_co_u32 v11, vcc_lo, v82, v2
	v_add_co_ci_u32_e32 v12, vcc_lo, 0, v83, vcc_lo
	s_xor_b32 s39, s38, -1
	s_delay_alu instid0(VALU_DEP_1) | instskip(SKIP_1) | instid1(SALU_CYCLE_1)
	v_cmp_ge_u64_e32 vcc_lo, v[11:12], v[8:9]
	s_or_b32 vcc_lo, s39, vcc_lo
	s_and_b32 vcc_lo, exec_lo, vcc_lo
	s_delay_alu instid0(SALU_CYCLE_1) | instskip(NEXT) | instid1(SALU_CYCLE_1)
	s_or_b32 s37, vcc_lo, s37
	s_and_not1_b32 exec_lo, exec_lo, s37
	s_cbranch_execz .LBB6_837
.LBB6_831:                              ;   Parent Loop BB6_55 Depth=1
                                        ;     Parent Loop BB6_825 Depth=2
                                        ; =>    This Inner Loop Header: Depth=3
	s_sleep 1
	flat_load_b64 v[82:83], v[64:65] glc
	v_and_b32_e32 v11, 64, v30
	s_and_not1_b32 s38, s38, exec_lo
	s_mov_b32 s39, exec_lo
	s_delay_alu instid0(VALU_DEP_1)
	v_cmpx_eq_u32_e32 0, v11
	s_cbranch_execz .LBB6_830
; %bb.832:                              ;   in Loop: Header=BB6_831 Depth=3
	v_add_nc_u32_e32 v11, 1, v10
	s_mov_b32 s42, -1
	s_mov_b32 s40, exec_lo
	v_cmpx_lt_i32_e32 0x270e, v10
	s_cbranch_execz .LBB6_829
; %bb.833:                              ;   in Loop: Header=BB6_831 Depth=3
	s_cbranch_execnz .LBB6_1566
; %bb.834:                              ;   in Loop: Header=BB6_831 Depth=3
	ds_load_b64 v[10:11], v0
	s_mov_b32 s43, exec_lo
	s_waitcnt vmcnt(0) lgkmcnt(0)
	s_waitcnt_vscnt null, 0x0
	flat_load_b32 v10, v[10:11] glc
	s_waitcnt vmcnt(0) lgkmcnt(0)
	buffer_gl1_inv
	buffer_gl0_inv
	v_cmpx_ne_u32_e32 0, v10
	s_cbranch_execz .LBB6_828
; %bb.835:                              ;   in Loop: Header=BB6_831 Depth=3
	ds_store_b32 v0, v10
	s_cbranch_execnz .LBB6_1620
; %bb.836:                              ;   in Loop: Header=BB6_831 Depth=3
	v_or_b32_e32 v30, 64, v30
	s_xor_b32 s42, exec_lo, -1
	s_branch .LBB6_828
.LBB6_837:                              ;   in Loop: Header=BB6_825 Depth=2
	s_or_b32 exec_lo, exec_lo, s37
	v_and_b32_e32 v10, 12, v30
.LBB6_838:                              ;   in Loop: Header=BB6_825 Depth=2
	s_or_b32 exec_lo, exec_lo, s13
	s_delay_alu instid0(VALU_DEP_1)
	v_cmp_eq_u32_e32 vcc_lo, 0, v10
	;;#ASMSTART
	s_wakeup
	;;#ASMEND
	s_or_not1_b32 s13, vcc_lo, exec_lo
.LBB6_839:                              ;   in Loop: Header=BB6_825 Depth=2
	s_or_b32 exec_lo, exec_lo, s4
	v_sub_nc_u32_e32 v2, v103, v112
	s_xor_b32 s2, s2, -1
	s_delay_alu instid0(SALU_CYCLE_1) | instskip(NEXT) | instid1(SALU_CYCLE_1)
	s_and_b32 s2, exec_lo, s2
	s_or_b32 s14, s2, s14
	s_delay_alu instid0(VALU_DEP_1) | instskip(SKIP_1) | instid1(SALU_CYCLE_1)
	v_min_i32_e32 v102, v102, v2
	s_xor_b32 s4, s13, -1
	s_and_saveexec_b32 s2, s4
	s_cbranch_execz .LBB6_854
; %bb.840:                              ;   in Loop: Header=BB6_825 Depth=2
	v_mov_b32_e32 v2, v103
	v_and_b32_e32 v8, 0x108, v30
	s_mov_b32 s4, exec_lo
	s_delay_alu instid0(VALU_DEP_1)
	v_cmpx_ne_u32_e32 0x108, v8
	s_xor_b32 s4, exec_lo, s4
                                        ; implicit-def: $vgpr8_vgpr9
; %bb.841:                              ;   in Loop: Header=BB6_825 Depth=2
	v_and_b32_e32 v8, 7, v66
; %bb.842:                              ;   in Loop: Header=BB6_825 Depth=2
	s_and_not1_saveexec_b32 s4, s4
	s_cbranch_execz .LBB6_844
; %bb.843:                              ;   in Loop: Header=BB6_825 Depth=2
	v_and_b32_e32 v8, 7, v66
	v_ashrrev_i32_e32 v103, 31, v102
	s_delay_alu instid0(VALU_DEP_2) | instskip(NEXT) | instid1(VALU_DEP_2)
	v_mad_u64_u32 v[9:10], null, v8, 24, v[6:7]
	v_lshlrev_b64 v[11:12], 3, v[102:103]
	flat_store_b64 v[9:10], v[11:12] offset:8
.LBB6_844:                              ;   in Loop: Header=BB6_825 Depth=2
	s_or_b32 exec_lo, exec_lo, s4
	v_and_b32_e32 v9, 0x100, v30
	s_mov_b32 s13, -1
	s_delay_alu instid0(VALU_DEP_1)
	v_cmp_ne_u32_e32 vcc_lo, 0, v9
                                        ; implicit-def: $vgpr9_vgpr10
	s_and_saveexec_b32 s4, vcc_lo
	s_cbranch_execz .LBB6_849
; %bb.845:                              ;   in Loop: Header=BB6_825 Depth=2
	v_mad_u64_u32 v[11:12], null, v8, 24, v[6:7]
	s_delay_alu instid0(VALU_DEP_1) | instskip(NEXT) | instid1(VALU_DEP_1)
	v_mov_b32_e32 v9, v12
	v_mad_u64_u32 v[12:13], null, v3, 24, v[9:10]
	flat_load_b32 v9, v[11:12]
	s_waitcnt vmcnt(0) lgkmcnt(0)
	v_cmp_ne_u32_e32 vcc_lo, 1, v9
	v_cmp_eq_u32_e64 s13, 1, v9
                                        ; implicit-def: $vgpr9_vgpr10
	s_delay_alu instid0(VALU_DEP_1)
	s_and_saveexec_b32 s37, s13
	s_cbranch_execz .LBB6_847
; %bb.846:                              ;   in Loop: Header=BB6_825 Depth=2
	flat_load_b32 v9, v[11:12] offset:4 glc
	s_waitcnt vmcnt(0) lgkmcnt(0)
	v_ashrrev_i32_e32 v10, 31, v9
	s_delay_alu instid0(VALU_DEP_1)
	v_lshrrev_b64 v[9:10], 3, v[9:10]
.LBB6_847:                              ;   in Loop: Header=BB6_825 Depth=2
	s_or_b32 exec_lo, exec_lo, s37
	s_delay_alu instid0(SALU_CYCLE_1)
	s_or_not1_b32 s13, vcc_lo, exec_lo
	s_or_b32 exec_lo, exec_lo, s4
	s_and_saveexec_b32 s4, s13
	s_cbranch_execnz .LBB6_850
.LBB6_848:                              ;   in Loop: Header=BB6_825 Depth=2
	s_or_b32 exec_lo, exec_lo, s4
	s_cbranch_execz .LBB6_851
	s_branch .LBB6_1562
.LBB6_849:                              ;   in Loop: Header=BB6_825 Depth=2
	s_or_b32 exec_lo, exec_lo, s4
	s_and_saveexec_b32 s4, s13
	s_cbranch_execz .LBB6_848
.LBB6_850:                              ;   in Loop: Header=BB6_825 Depth=2
	v_mul_lo_u32 v11, v3, v145
	v_mul_lo_u32 v12, v8, v146
	v_mad_u64_u32 v[9:10], null, v8, v145, 0
	s_delay_alu instid0(VALU_DEP_1)
	v_add3_u32 v10, v10, v12, v11
	s_or_b32 exec_lo, exec_lo, s4
	s_cbranch_execnz .LBB6_1562
.LBB6_851:                              ;   in Loop: Header=BB6_825 Depth=2
	s_delay_alu instid0(VALU_DEP_1) | instskip(SKIP_2) | instid1(VALU_DEP_2)
	v_lshlrev_b64 v[8:9], 3, v[9:10]
	v_and_b32_e32 v10, 0x2000, v30
	s_mov_b32 s4, exec_lo
	v_add_co_u32 v8, vcc_lo, v68, v8
	s_delay_alu instid0(VALU_DEP_3)
	v_add_co_ci_u32_e32 v9, vcc_lo, v69, v9, vcc_lo
	ds_store_b64 v0, v[8:9]
	v_cmpx_ne_u32_e32 0, v10
	s_cbranch_execz .LBB6_853
; %bb.852:                              ;   in Loop: Header=BB6_825 Depth=2
	ds_load_b64 v[8:9], v0 offset:584
	s_waitcnt lgkmcnt(0)
	v_add_co_u32 v8, vcc_lo, v8, 1
	v_add_co_ci_u32_e32 v9, vcc_lo, 0, v9, vcc_lo
	ds_store_b64 v0, v[8:9] offset:584
.LBB6_853:                              ;   in Loop: Header=BB6_825 Depth=2
	s_or_b32 exec_lo, exec_lo, s4
	v_add_co_u32 v66, vcc_lo, v66, 2
	v_add_co_ci_u32_e32 v67, vcc_lo, 0, v67, vcc_lo
	v_mov_b32_e32 v103, v2
.LBB6_854:                              ;   in Loop: Header=BB6_825 Depth=2
	s_or_b32 exec_lo, exec_lo, s2
	s_delay_alu instid0(VALU_DEP_1)
	v_mov_b32_e32 v8, v103
	s_and_saveexec_b32 s2, s3
	s_cbranch_execz .LBB6_876
; %bb.855:                              ;   in Loop: Header=BB6_825 Depth=2
	s_and_saveexec_b32 s4, s41
	s_delay_alu instid0(SALU_CYCLE_1)
	s_xor_b32 s4, exec_lo, s4
	s_cbranch_execz .LBB6_873
; %bb.856:                              ;   in Loop: Header=BB6_825 Depth=2
	s_and_saveexec_b32 s13, s1
	s_cbranch_execz .LBB6_872
; %bb.857:                              ;   in Loop: Header=BB6_825 Depth=2
	s_mov_b32 s38, exec_lo
	s_mov_b32 s37, exec_lo
	v_mbcnt_lo_u32_b32 v2, s38, 0
	s_waitcnt lgkmcnt(0)
	s_waitcnt_vscnt null, 0x0
	buffer_gl1_inv
	buffer_gl0_inv
	v_cmpx_eq_u32_e32 0, v2
	s_cbranch_execz .LBB6_859
; %bb.858:                              ;   in Loop: Header=BB6_825 Depth=2
	s_bcnt1_i32_b32 vcc_lo, s38
	s_delay_alu instid0(SALU_CYCLE_1)
	v_mov_b32_e32 v2, vcc_lo
	ds_add_u64 v0, v[2:3]
	s_cbranch_execnz .LBB6_1676
.LBB6_859:                              ;   in Loop: Header=BB6_825 Depth=2
	s_or_b32 exec_lo, exec_lo, s37
	s_cbranch_execnz .LBB6_1650
; %bb.860:                              ;   in Loop: Header=BB6_825 Depth=2
	ds_load_b64 v[9:10], v0
	v_add_co_u32 v80, vcc_lo, v80, v147
	v_add_co_ci_u32_e32 v81, vcc_lo, 0, v81, vcc_lo
	s_mov_b32 s37, exec_lo
	s_waitcnt lgkmcnt(0)
	s_delay_alu instid0(VALU_DEP_1)
	v_cmpx_lt_u64_e64 v[9:10], v[80:81]
	s_cbranch_execz .LBB6_871
; %bb.861:                              ;   in Loop: Header=BB6_825 Depth=2
	s_mov_b32 s38, 0
	s_mov_b32 s42, 0
                                        ; implicit-def: $sgpr39
                                        ; implicit-def: $sgpr40
	s_branch .LBB6_863
.LBB6_862:                              ;   in Loop: Header=BB6_863 Depth=3
	s_or_b32 exec_lo, exec_lo, s44
	s_delay_alu instid0(SALU_CYCLE_1) | instskip(NEXT) | instid1(SALU_CYCLE_1)
	s_and_b32 vcc_lo, exec_lo, vcc_lo
	s_or_b32 s38, vcc_lo, s38
	s_and_not1_b32 vcc_lo, s39, exec_lo
	s_and_b32 s39, s40, exec_lo
	s_delay_alu instid0(SALU_CYCLE_1)
	s_or_b32 s39, vcc_lo, s39
	s_and_not1_b32 exec_lo, exec_lo, s38
	s_cbranch_execz .LBB6_869
.LBB6_863:                              ;   Parent Loop BB6_55 Depth=1
                                        ;     Parent Loop BB6_825 Depth=2
                                        ; =>    This Inner Loop Header: Depth=3
	s_add_i32 s42, s42, 1
                                        ; implicit-def: $sgpr44
	s_delay_alu instid0(SALU_CYCLE_1) | instskip(SKIP_1) | instid1(SALU_CYCLE_1)
	s_cmpk_lg_i32 s42, 0x2710
	s_cselect_b32 s43, -1, 0
	s_and_b32 vcc_lo, exec_lo, s43
	s_cbranch_vccz .LBB6_867
.LBB6_864:                              ;   in Loop: Header=BB6_863 Depth=3
	s_and_not1_b32 s40, s40, exec_lo
	s_and_b32 s44, s44, exec_lo
	s_mov_b32 vcc_lo, -1
	s_or_b32 s40, s40, s44
	s_and_saveexec_b32 s44, s43
	s_cbranch_execz .LBB6_862
; %bb.865:                              ;   in Loop: Header=BB6_863 Depth=3
	s_sleep 1
	s_cbranch_execnz .LBB6_1724
; %bb.866:                              ;   in Loop: Header=BB6_863 Depth=3
	ds_load_b64 v[9:10], v0
	s_and_not1_b32 s40, s40, exec_lo
	s_waitcnt lgkmcnt(0)
	v_cmp_ge_u64_e32 vcc_lo, v[9:10], v[80:81]
	s_or_not1_b32 vcc_lo, vcc_lo, exec_lo
	s_branch .LBB6_862
.LBB6_867:                              ;   in Loop: Header=BB6_863 Depth=3
	s_cbranch_execnz .LBB6_1740
; %bb.868:                              ;   in Loop: Header=BB6_863 Depth=3
	ds_load_b64 v[9:10], v0
	s_and_not1_b32 s43, s43, exec_lo
	s_mov_b32 s42, 0
	s_mov_b32 s44, -1
	s_waitcnt lgkmcnt(0)
	flat_load_b32 v2, v[9:10] glc
	s_waitcnt vmcnt(0) lgkmcnt(0)
	buffer_gl1_inv
	buffer_gl0_inv
	v_cmp_eq_u32_e32 vcc_lo, 0, v2
	s_and_b32 vcc_lo, vcc_lo, exec_lo
	s_delay_alu instid0(SALU_CYCLE_1)
	s_or_b32 s43, s43, vcc_lo
	s_branch .LBB6_864
.LBB6_869:                              ;   in Loop: Header=BB6_825 Depth=2
	s_or_b32 exec_lo, exec_lo, s38
	s_and_saveexec_b32 vcc_lo, s39
	s_delay_alu instid0(SALU_CYCLE_1)
	s_xor_b32 vcc_lo, exec_lo, vcc_lo
	s_cbranch_execz .LBB6_871
; %bb.870:                              ;   in Loop: Header=BB6_825 Depth=2
	ds_store_b32 v0, v41
	s_cbranch_execnz .LBB6_1930
.LBB6_871:                              ;   in Loop: Header=BB6_825 Depth=2
	s_or_b32 exec_lo, exec_lo, s37
	;;#ASMSTART
	s_wakeup
	;;#ASMEND
.LBB6_872:                              ;   in Loop: Header=BB6_825 Depth=2
	s_or_b32 exec_lo, exec_lo, s13
.LBB6_873:                              ;   in Loop: Header=BB6_825 Depth=2
	s_and_not1_saveexec_b32 s4, s4
	s_cbranch_execz .LBB6_875
; %bb.874:                              ;   in Loop: Header=BB6_825 Depth=2
	s_waitcnt lgkmcnt(0)
	s_waitcnt_vscnt null, 0x0
	buffer_gl1_inv
	buffer_gl0_inv
	s_barrier
.LBB6_875:                              ;   in Loop: Header=BB6_825 Depth=2
	s_or_b32 exec_lo, exec_lo, s4
.LBB6_876:                              ;   in Loop: Header=BB6_825 Depth=2
	s_delay_alu instid0(SALU_CYCLE_1) | instskip(SKIP_1) | instid1(SALU_CYCLE_1)
	s_or_b32 exec_lo, exec_lo, s2
                                        ; implicit-def: $vgpr2
	s_and_saveexec_b32 s2, s7
	s_xor_b32 s2, exec_lo, s2
	s_cbranch_execz .LBB6_881
; %bb.877:                              ;   in Loop: Header=BB6_825 Depth=2
	s_cbranch_execnz .LBB6_1576
; %bb.878:                              ;   in Loop: Header=BB6_825 Depth=2
	ds_load_b32 v2, v0
	v_cmp_lt_i32_e32 vcc_lo, 0, v102
	s_waitcnt lgkmcnt(0)
	v_readfirstlane_b32 s4, v2
	v_and_b32_e32 v2, 16, v30
	s_delay_alu instid0(VALU_DEP_2) | instskip(NEXT) | instid1(VALU_DEP_1)
	s_cmp_eq_u32 s4, 0
	v_cmp_ne_u32_e64 s13, 0, v2
	s_cselect_b32 s4, -1, 0
	v_and_b32_e32 v2, 16, v30
	s_and_b32 s4, vcc_lo, s4
	s_delay_alu instid0(VALU_DEP_2) | instid1(SALU_CYCLE_1)
	s_and_b32 s13, s13, s4
	s_delay_alu instid0(SALU_CYCLE_1)
	s_and_saveexec_b32 s4, s13
	s_cbranch_execz .LBB6_880
; %bb.879:                              ;   in Loop: Header=BB6_825 Depth=2
	v_mov_b32_e32 v2, 1
	s_waitcnt_vscnt null, 0x0
	buffer_gl1_inv
	buffer_gl0_inv
.LBB6_880:                              ;   in Loop: Header=BB6_825 Depth=2
	s_or_b32 exec_lo, exec_lo, s4
.LBB6_881:                              ;   in Loop: Header=BB6_825 Depth=2
	s_and_not1_saveexec_b32 s2, s2
	s_cbranch_execz .LBB6_903
; %bb.882:                              ;   in Loop: Header=BB6_825 Depth=2
	s_and_saveexec_b32 s4, s41
	s_delay_alu instid0(SALU_CYCLE_1)
	s_xor_b32 s4, exec_lo, s4
	s_cbranch_execz .LBB6_900
; %bb.883:                              ;   in Loop: Header=BB6_825 Depth=2
	s_and_saveexec_b32 s13, s1
	s_cbranch_execz .LBB6_899
; %bb.884:                              ;   in Loop: Header=BB6_825 Depth=2
	s_mov_b32 s38, exec_lo
	s_mov_b32 s37, exec_lo
	v_mbcnt_lo_u32_b32 v2, s38, 0
	;;#ASMSTART
	s_waitcnt lgkmcnt(0) vmcnt(0)
	;;#ASMEND
	s_delay_alu instid0(VALU_DEP_1)
	v_cmpx_eq_u32_e32 0, v2
	s_cbranch_execz .LBB6_886
; %bb.885:                              ;   in Loop: Header=BB6_825 Depth=2
	s_bcnt1_i32_b32 vcc_lo, s38
	s_delay_alu instid0(SALU_CYCLE_1)
	v_mov_b32_e32 v2, vcc_lo
	ds_add_u64 v0, v[2:3]
	s_cbranch_execnz .LBB6_1686
.LBB6_886:                              ;   in Loop: Header=BB6_825 Depth=2
	s_or_b32 exec_lo, exec_lo, s37
	s_cbranch_execnz .LBB6_1674
; %bb.887:                              ;   in Loop: Header=BB6_825 Depth=2
	ds_load_b64 v[9:10], v0
	v_add_co_u32 v80, vcc_lo, v80, v147
	v_add_co_ci_u32_e32 v81, vcc_lo, 0, v81, vcc_lo
	s_mov_b32 s37, exec_lo
	s_waitcnt lgkmcnt(0)
	s_delay_alu instid0(VALU_DEP_1)
	v_cmpx_lt_u64_e64 v[9:10], v[80:81]
	s_cbranch_execz .LBB6_898
; %bb.888:                              ;   in Loop: Header=BB6_825 Depth=2
	s_mov_b32 s38, 0
	s_mov_b32 s42, 0
                                        ; implicit-def: $sgpr39
                                        ; implicit-def: $sgpr40
	s_branch .LBB6_890
.LBB6_889:                              ;   in Loop: Header=BB6_890 Depth=3
	s_or_b32 exec_lo, exec_lo, s44
	s_delay_alu instid0(SALU_CYCLE_1) | instskip(NEXT) | instid1(SALU_CYCLE_1)
	s_and_b32 vcc_lo, exec_lo, vcc_lo
	s_or_b32 s38, vcc_lo, s38
	s_and_not1_b32 vcc_lo, s39, exec_lo
	s_and_b32 s39, s40, exec_lo
	s_delay_alu instid0(SALU_CYCLE_1)
	s_or_b32 s39, vcc_lo, s39
	s_and_not1_b32 exec_lo, exec_lo, s38
	s_cbranch_execz .LBB6_896
.LBB6_890:                              ;   Parent Loop BB6_55 Depth=1
                                        ;     Parent Loop BB6_825 Depth=2
                                        ; =>    This Inner Loop Header: Depth=3
	s_add_i32 s42, s42, 1
                                        ; implicit-def: $sgpr44
	s_delay_alu instid0(SALU_CYCLE_1) | instskip(SKIP_1) | instid1(SALU_CYCLE_1)
	s_cmpk_lg_i32 s42, 0x2710
	s_cselect_b32 s43, -1, 0
	s_and_b32 vcc_lo, exec_lo, s43
	s_cbranch_vccz .LBB6_894
.LBB6_891:                              ;   in Loop: Header=BB6_890 Depth=3
	s_and_not1_b32 s40, s40, exec_lo
	s_and_b32 s44, s44, exec_lo
	s_mov_b32 vcc_lo, -1
	s_or_b32 s40, s40, s44
	s_and_saveexec_b32 s44, s43
	s_cbranch_execz .LBB6_889
; %bb.892:                              ;   in Loop: Header=BB6_890 Depth=3
	s_sleep 1
	s_cbranch_execnz .LBB6_1748
; %bb.893:                              ;   in Loop: Header=BB6_890 Depth=3
	ds_load_b64 v[9:10], v0
	s_and_not1_b32 s40, s40, exec_lo
	s_waitcnt lgkmcnt(0)
	v_cmp_ge_u64_e32 vcc_lo, v[9:10], v[80:81]
	s_or_not1_b32 vcc_lo, vcc_lo, exec_lo
	s_branch .LBB6_889
.LBB6_894:                              ;   in Loop: Header=BB6_890 Depth=3
	s_cbranch_execnz .LBB6_1760
; %bb.895:                              ;   in Loop: Header=BB6_890 Depth=3
	ds_load_b64 v[9:10], v0
	s_and_not1_b32 s43, s43, exec_lo
	s_mov_b32 s42, 0
	s_mov_b32 s44, -1
	s_waitcnt lgkmcnt(0)
	s_waitcnt_vscnt null, 0x0
	flat_load_b32 v2, v[9:10] glc
	s_waitcnt vmcnt(0) lgkmcnt(0)
	buffer_gl1_inv
	buffer_gl0_inv
	v_cmp_eq_u32_e32 vcc_lo, 0, v2
	s_and_b32 vcc_lo, vcc_lo, exec_lo
	s_delay_alu instid0(SALU_CYCLE_1)
	s_or_b32 s43, s43, vcc_lo
	s_branch .LBB6_891
.LBB6_896:                              ;   in Loop: Header=BB6_825 Depth=2
	s_or_b32 exec_lo, exec_lo, s38
	s_and_saveexec_b32 vcc_lo, s39
	s_delay_alu instid0(SALU_CYCLE_1)
	s_xor_b32 vcc_lo, exec_lo, vcc_lo
	s_cbranch_execz .LBB6_898
; %bb.897:                              ;   in Loop: Header=BB6_825 Depth=2
	ds_store_b32 v0, v41
	s_cbranch_execnz .LBB6_1942
.LBB6_898:                              ;   in Loop: Header=BB6_825 Depth=2
	s_or_b32 exec_lo, exec_lo, s37
	;;#ASMSTART
	s_wakeup
	;;#ASMEND
.LBB6_899:                              ;   in Loop: Header=BB6_825 Depth=2
	s_or_b32 exec_lo, exec_lo, s13
.LBB6_900:                              ;   in Loop: Header=BB6_825 Depth=2
	s_and_not1_saveexec_b32 s4, s4
	s_cbranch_execz .LBB6_902
; %bb.901:                              ;   in Loop: Header=BB6_825 Depth=2
	;;#ASMSTART
	s_waitcnt lgkmcnt(0) vmcnt(0)
	;;#ASMEND
	s_waitcnt lgkmcnt(0)
	s_waitcnt_vscnt null, 0x0
	s_barrier
.LBB6_902:                              ;   in Loop: Header=BB6_825 Depth=2
	s_or_b32 exec_lo, exec_lo, s4
	v_and_b32_e32 v2, 16, v30
.LBB6_903:                              ;   in Loop: Header=BB6_825 Depth=2
	s_or_b32 exec_lo, exec_lo, s2
	s_delay_alu instid0(VALU_DEP_1) | instskip(SKIP_1) | instid1(SALU_CYCLE_1)
	v_cmp_ne_u32_e32 vcc_lo, 0, v2
	s_xor_b32 s2, s10, -1
	s_and_b32 s4, vcc_lo, s2
	s_delay_alu instid0(SALU_CYCLE_1)
	s_and_saveexec_b32 s2, s4
	s_cbranch_execz .LBB6_905
; %bb.904:                              ;   in Loop: Header=BB6_825 Depth=2
	s_waitcnt lgkmcnt(0)
	s_waitcnt_vscnt null, 0x0
	flat_store_b32 v[70:71], v41
.LBB6_905:                              ;   in Loop: Header=BB6_825 Depth=2
	s_or_b32 exec_lo, exec_lo, s2
	v_and_b32_e32 v2, 48, v30
	s_mov_b32 s2, exec_lo
	s_delay_alu instid0(VALU_DEP_1)
	v_cmpx_ne_u32_e32 0, v2
	s_cbranch_execz .LBB6_907
; %bb.906:                              ;   in Loop: Header=BB6_825 Depth=2
	v_add_co_u32 v66, vcc_lo, v66, 2
	v_add_co_ci_u32_e32 v67, vcc_lo, 0, v67, vcc_lo
	s_waitcnt lgkmcnt(0)
	s_waitcnt_vscnt null, 0x0
	flat_store_b64 v[64:65], v[66:67]
.LBB6_907:                              ;   in Loop: Header=BB6_825 Depth=2
	s_or_b32 exec_lo, exec_lo, s2
	v_dual_mov_b32 v103, v8 :: v_dual_add_nc_u32 v112, v102, v112
	s_mov_b32 s2, 0
	s_and_not1_b32 exec_lo, exec_lo, s14
	s_cbranch_execnz .LBB6_825
; %bb.908:                              ;   in Loop: Header=BB6_55 Depth=1
	s_or_b32 exec_lo, exec_lo, s14
	s_mov_b32 s14, s6
	s_mov_b32 s37, s5
	;; [unrolled: 1-line block ×4, first 2 shown]
.LBB6_909:                              ;   in Loop: Header=BB6_55 Depth=1
	s_mov_b32 s2, s6
	s_delay_alu instid0(SALU_CYCLE_1)
	v_writelane_b32 v74, s2, 3
	v_writelane_b32 v74, s21, 13
	;; [unrolled: 1-line block ×6, first 2 shown]
	s_or_b32 exec_lo, exec_lo, s11
	s_mov_b32 s6, s5
	s_mov_b32 s5, s15
	;; [unrolled: 1-line block ×7, first 2 shown]
	s_and_not1_b32 vcc_lo, exec_lo, s34
	s_cbranch_vccnz .LBB6_1204
; %bb.910:                              ;   in Loop: Header=BB6_55 Depth=1
	s_mov_b32 s30, 1
.LBB6_911:                              ;   Parent Loop BB6_55 Depth=1
                                        ; =>  This Loop Header: Depth=2
                                        ;       Child Loop BB6_913 Depth 3
                                        ;         Child Loop BB6_922 Depth 4
                                        ;         Child Loop BB6_952 Depth 4
	;; [unrolled: 1-line block ×5, first 2 shown]
                                        ;           Child Loop BB6_1007 Depth 5
                                        ;         Child Loop BB6_1018 Depth 4
                                        ;         Child Loop BB6_1024 Depth 4
                                        ;           Child Loop BB6_1025 Depth 5
                                        ;         Child Loop BB6_1039 Depth 4
                                        ;         Child Loop BB6_1045 Depth 4
                                        ;         Child Loop BB6_1055 Depth 4
                                        ;         Child Loop BB6_1061 Depth 4
                                        ;         Child Loop BB6_1073 Depth 4
                                        ;         Child Loop BB6_1099 Depth 4
                                        ;       Child Loop BB6_1120 Depth 3
                                        ;         Child Loop BB6_1126 Depth 4
                                        ;         Child Loop BB6_1156 Depth 4
	;; [unrolled: 1-line block ×3, first 2 shown]
	s_delay_alu instid0(SALU_CYCLE_1) | instskip(SKIP_4) | instid1(SALU_CYCLE_1)
	s_sub_i32 s2, s18, s30
	v_mov_b32_e32 v14, 0
	s_cmp_le_i32 s27, s2
	s_mov_b32 s34, 0
	s_cselect_b32 s4, s27, 0
	s_sub_i32 s2, s2, s4
	s_delay_alu instid0(SALU_CYCLE_1) | instskip(SKIP_3) | instid1(VALU_DEP_1)
	s_ashr_i32 s4, s2, 31
	v_mul_lo_u32 v2, v97, s2
	v_mad_u64_u32 v[8:9], null, v96, s2, 0
	v_mul_lo_u32 v10, v96, s4
	v_add3_u32 v9, v9, v10, v2
	s_delay_alu instid0(VALU_DEP_3) | instskip(NEXT) | instid1(VALU_DEP_2)
	v_sub_co_u32 v10, vcc_lo, v98, v8
	v_sub_co_ci_u32_e32 v11, vcc_lo, v99, v9, vcc_lo
	s_delay_alu instid0(VALU_DEP_1) | instskip(SKIP_1) | instid1(VALU_DEP_1)
	v_cmp_lt_i64_e32 vcc_lo, v[96:97], v[10:11]
	v_cndmask_b32_e32 v10, v10, v96, vcc_lo
	v_max_i32_e32 v20, 0, v10
	s_delay_alu instid0(VALU_DEP_1) | instskip(NEXT) | instid1(VALU_DEP_1)
	v_add_nc_u32_e32 v2, 31, v20
	v_lshrrev_b32_e32 v2, 1, v2
	s_delay_alu instid0(VALU_DEP_1) | instskip(SKIP_2) | instid1(VALU_DEP_3)
	v_and_b32_e32 v11, 0x3ffffff0, v2
	v_cmp_lt_i32_e32 vcc_lo, 0, v10
	v_mov_b32_e32 v2, 0
	v_max_i32_e32 v12, s19, v11
	s_and_b32 s2, s17, vcc_lo
	s_delay_alu instid0(SALU_CYCLE_1)
	s_and_saveexec_b32 s31, s2
	s_cbranch_execz .LBB6_1118
; %bb.912:                              ;   in Loop: Header=BB6_911 Depth=2
	v_add_co_u32 v8, vcc_lo, v8, v100
	v_add_co_ci_u32_e32 v9, vcc_lo, v9, v101, vcc_lo
	v_mov_b32_e32 v14, 0
	s_mov_b32 s36, 1
	s_mov_b32 s35, -1
	s_delay_alu instid0(VALU_DEP_2)
	v_lshlrev_b64 v[16:17], 3, v[8:9]
.LBB6_913:                              ;   Parent Loop BB6_55 Depth=1
                                        ;     Parent Loop BB6_911 Depth=2
                                        ; =>    This Loop Header: Depth=3
                                        ;         Child Loop BB6_922 Depth 4
                                        ;         Child Loop BB6_952 Depth 4
	;; [unrolled: 1-line block ×5, first 2 shown]
                                        ;           Child Loop BB6_1007 Depth 5
                                        ;         Child Loop BB6_1018 Depth 4
                                        ;         Child Loop BB6_1024 Depth 4
                                        ;           Child Loop BB6_1025 Depth 5
                                        ;         Child Loop BB6_1039 Depth 4
                                        ;         Child Loop BB6_1045 Depth 4
	;; [unrolled: 1-line block ×6, first 2 shown]
	s_and_saveexec_b32 s2, s0
	s_cbranch_execz .LBB6_916
; %bb.914:                              ;   in Loop: Header=BB6_913 Depth=3
	s_cbranch_execnz .LBB6_1602
; %bb.915:                              ;   in Loop: Header=BB6_913 Depth=3
	ds_load_b128 v[8:11], v0
	v_ashrrev_i32_e32 v15, 31, v14
	s_delay_alu instid0(VALU_DEP_1)
	v_lshlrev_b64 v[18:19], 3, v[14:15]
	s_waitcnt lgkmcnt(0)
	v_add_co_u32 v2, vcc_lo, v10, v16
	v_add_co_ci_u32_e32 v13, vcc_lo, v11, v17, vcc_lo
	v_add_co_u32 v8, vcc_lo, v8, v16
	v_add_co_ci_u32_e32 v9, vcc_lo, v9, v17, vcc_lo
	s_delay_alu instid0(VALU_DEP_4) | instskip(NEXT) | instid1(VALU_DEP_4)
	v_add_co_u32 v2, vcc_lo, v2, v18
	v_add_co_ci_u32_e32 v13, vcc_lo, v13, v19, vcc_lo
	v_cmp_ne_u64_e32 vcc_lo, 0, v[10:11]
	v_add_co_u32 v8, s13, v8, v18
	s_delay_alu instid0(VALU_DEP_1) | instskip(NEXT) | instid1(VALU_DEP_4)
	v_add_co_ci_u32_e64 v9, s13, v9, v19, s13
	v_dual_cndmask_b32 v11, 0, v13 :: v_dual_cndmask_b32 v10, 0, v2
	ds_store_b64 v0, v[8:9]
	ds_store_b64 v0, v[10:11]
.LBB6_916:                              ;   in Loop: Header=BB6_913 Depth=3
	s_or_b32 exec_lo, exec_lo, s2
	v_and_b32_e32 v2, 12, v30
	s_mov_b32 s4, -1
	s_mov_b32 s2, exec_lo
	s_delay_alu instid0(VALU_DEP_1)
	v_cmpx_ne_u32_e32 0, v2
	s_cbranch_execz .LBB6_930
; %bb.917:                              ;   in Loop: Header=BB6_913 Depth=3
	v_and_b32_e32 v2, 8, v30
	s_delay_alu instid0(VALU_DEP_1) | instskip(SKIP_3) | instid1(VALU_DEP_1)
	v_add_co_u32 v10, vcc_lo, v82, v2
	v_add_co_ci_u32_e32 v11, vcc_lo, 0, v83, vcc_lo
	v_add_co_u32 v8, vcc_lo, v66, 2
	v_add_co_ci_u32_e32 v9, vcc_lo, 0, v67, vcc_lo
	v_cmp_lt_u64_e32 vcc_lo, v[10:11], v[8:9]
	v_mov_b32_e32 v10, 1
	s_and_saveexec_b32 s4, vcc_lo
	s_cbranch_execz .LBB6_929
; %bb.918:                              ;   in Loop: Header=BB6_913 Depth=3
	v_mov_b32_e32 v10, 0
	s_mov_b32 s11, 0
                                        ; implicit-def: $sgpr13
	s_branch .LBB6_922
.LBB6_919:                              ;   in Loop: Header=BB6_922 Depth=4
	s_or_b32 exec_lo, exec_lo, s38
	v_mov_b32_e32 v11, 0
	s_or_not1_b32 s37, s37, exec_lo
.LBB6_920:                              ;   in Loop: Header=BB6_922 Depth=4
	s_or_b32 exec_lo, exec_lo, s15
	s_delay_alu instid0(VALU_DEP_1) | instskip(SKIP_2) | instid1(SALU_CYCLE_1)
	v_mov_b32_e32 v10, v11
	s_and_not1_b32 s13, s13, exec_lo
	s_and_b32 s15, s37, exec_lo
	s_or_b32 s13, s13, s15
.LBB6_921:                              ;   in Loop: Header=BB6_922 Depth=4
	s_or_b32 exec_lo, exec_lo, s14
	s_waitcnt vmcnt(0) lgkmcnt(0)
	v_add_co_u32 v18, vcc_lo, v82, v2
	v_add_co_ci_u32_e32 v19, vcc_lo, 0, v83, vcc_lo
	s_xor_b32 s14, s13, -1
	s_delay_alu instid0(VALU_DEP_1) | instskip(SKIP_1) | instid1(SALU_CYCLE_1)
	v_cmp_ge_u64_e32 vcc_lo, v[18:19], v[8:9]
	s_or_b32 s14, s14, vcc_lo
	s_and_b32 s14, exec_lo, s14
	s_delay_alu instid0(SALU_CYCLE_1) | instskip(NEXT) | instid1(SALU_CYCLE_1)
	s_or_b32 s11, s14, s11
	s_and_not1_b32 exec_lo, exec_lo, s11
	s_cbranch_execz .LBB6_928
.LBB6_922:                              ;   Parent Loop BB6_55 Depth=1
                                        ;     Parent Loop BB6_911 Depth=2
                                        ;       Parent Loop BB6_913 Depth=3
                                        ; =>      This Inner Loop Header: Depth=4
	s_sleep 1
	flat_load_b64 v[82:83], v[64:65] glc
	v_and_b32_e32 v11, 64, v30
	s_and_not1_b32 s13, s13, exec_lo
	s_mov_b32 s14, exec_lo
	s_delay_alu instid0(VALU_DEP_1)
	v_cmpx_eq_u32_e32 0, v11
	s_cbranch_execz .LBB6_921
; %bb.923:                              ;   in Loop: Header=BB6_922 Depth=4
	v_add_nc_u32_e32 v11, 1, v10
	s_mov_b32 s37, -1
	s_mov_b32 s15, exec_lo
	v_cmpx_lt_i32_e32 0x270e, v10
	s_cbranch_execz .LBB6_920
; %bb.924:                              ;   in Loop: Header=BB6_922 Depth=4
	s_cbranch_execnz .LBB6_1640
; %bb.925:                              ;   in Loop: Header=BB6_922 Depth=4
	ds_load_b64 v[10:11], v0
	s_mov_b32 s38, exec_lo
	s_waitcnt vmcnt(0) lgkmcnt(0)
	s_waitcnt_vscnt null, 0x0
	flat_load_b32 v10, v[10:11] glc
	s_waitcnt vmcnt(0) lgkmcnt(0)
	buffer_gl1_inv
	buffer_gl0_inv
	v_cmpx_ne_u32_e32 0, v10
	s_cbranch_execz .LBB6_919
; %bb.926:                              ;   in Loop: Header=BB6_922 Depth=4
	ds_store_b32 v0, v10
	s_cbranch_execnz .LBB6_1722
; %bb.927:                              ;   in Loop: Header=BB6_922 Depth=4
	v_or_b32_e32 v30, 64, v30
	s_xor_b32 s37, exec_lo, -1
	s_branch .LBB6_919
.LBB6_928:                              ;   in Loop: Header=BB6_913 Depth=3
	s_or_b32 exec_lo, exec_lo, s11
	v_and_b32_e32 v10, 12, v30
.LBB6_929:                              ;   in Loop: Header=BB6_913 Depth=3
	s_or_b32 exec_lo, exec_lo, s4
	s_delay_alu instid0(VALU_DEP_1)
	v_cmp_eq_u32_e32 vcc_lo, 0, v10
	;;#ASMSTART
	s_wakeup
	;;#ASMEND
	s_or_not1_b32 s4, vcc_lo, exec_lo
.LBB6_930:                              ;   in Loop: Header=BB6_913 Depth=3
	s_or_b32 exec_lo, exec_lo, s2
	v_sub_nc_u32_e32 v2, v20, v14
	s_xor_b32 s4, s4, -1
	s_delay_alu instid0(VALU_DEP_1)
	v_min_i32_e32 v12, v12, v2
	s_and_saveexec_b32 s2, s4
	s_cbranch_execz .LBB6_943
; %bb.931:                              ;   in Loop: Header=BB6_913 Depth=3
	v_and_b32_e32 v2, 0x108, v30
	s_delay_alu instid0(VALU_DEP_1) | instskip(SKIP_2) | instid1(SALU_CYCLE_1)
	v_cmp_ne_u32_e32 vcc_lo, 0x108, v2
	v_and_b32_e32 v2, 7, v66
	s_and_saveexec_b32 s4, vcc_lo
	s_xor_b32 s4, exec_lo, s4
	s_delay_alu instid0(SALU_CYCLE_1)
	s_and_not1_saveexec_b32 s4, s4
	s_cbranch_execz .LBB6_933
; %bb.932:                              ;   in Loop: Header=BB6_913 Depth=3
	v_ashrrev_i32_e32 v13, 31, v12
	v_mad_u64_u32 v[8:9], null, v2, 24, v[6:7]
	s_delay_alu instid0(VALU_DEP_2)
	v_lshlrev_b64 v[10:11], 3, v[12:13]
	flat_store_b64 v[8:9], v[10:11] offset:8
.LBB6_933:                              ;   in Loop: Header=BB6_913 Depth=3
	s_or_b32 exec_lo, exec_lo, s4
	v_and_b32_e32 v8, 0x100, v30
	s_mov_b32 s11, -1
	s_delay_alu instid0(VALU_DEP_1)
	v_cmp_ne_u32_e32 vcc_lo, 0, v8
                                        ; implicit-def: $vgpr8_vgpr9
	s_and_saveexec_b32 s4, vcc_lo
	s_cbranch_execz .LBB6_938
; %bb.934:                              ;   in Loop: Header=BB6_913 Depth=3
	v_mad_u64_u32 v[10:11], null, v2, 24, v[6:7]
	s_delay_alu instid0(VALU_DEP_1) | instskip(NEXT) | instid1(VALU_DEP_1)
	v_mov_b32_e32 v8, v11
	v_mad_u64_u32 v[18:19], null, v3, 24, v[8:9]
	s_delay_alu instid0(VALU_DEP_1) | instskip(SKIP_4) | instid1(VALU_DEP_1)
	v_mov_b32_e32 v11, v18
	flat_load_b32 v8, v[10:11]
	s_waitcnt vmcnt(0) lgkmcnt(0)
	v_cmp_ne_u32_e32 vcc_lo, 1, v8
	v_cmp_eq_u32_e64 s13, 1, v8
                                        ; implicit-def: $vgpr8_vgpr9
	s_and_saveexec_b32 s11, s13
	s_cbranch_execz .LBB6_936
; %bb.935:                              ;   in Loop: Header=BB6_913 Depth=3
	flat_load_b32 v8, v[10:11] offset:4 glc
	s_waitcnt vmcnt(0) lgkmcnt(0)
	v_ashrrev_i32_e32 v9, 31, v8
	s_delay_alu instid0(VALU_DEP_1)
	v_lshrrev_b64 v[8:9], 3, v[8:9]
.LBB6_936:                              ;   in Loop: Header=BB6_913 Depth=3
	s_or_b32 exec_lo, exec_lo, s11
	s_delay_alu instid0(SALU_CYCLE_1)
	s_or_not1_b32 s11, vcc_lo, exec_lo
	s_or_b32 exec_lo, exec_lo, s4
	s_and_saveexec_b32 s4, s11
	s_cbranch_execnz .LBB6_939
.LBB6_937:                              ;   in Loop: Header=BB6_913 Depth=3
	s_or_b32 exec_lo, exec_lo, s4
	s_cbranch_execz .LBB6_940
	s_branch .LBB6_1630
.LBB6_938:                              ;   in Loop: Header=BB6_913 Depth=3
	s_or_b32 exec_lo, exec_lo, s4
	s_and_saveexec_b32 s4, s11
	s_cbranch_execz .LBB6_937
.LBB6_939:                              ;   in Loop: Header=BB6_913 Depth=3
	v_mul_lo_u32 v10, v3, v145
	v_mul_lo_u32 v11, v2, v146
	v_mad_u64_u32 v[8:9], null, v2, v145, 0
	s_delay_alu instid0(VALU_DEP_1)
	v_add3_u32 v9, v9, v11, v10
	s_or_b32 exec_lo, exec_lo, s4
	s_cbranch_execnz .LBB6_1630
.LBB6_940:                              ;   in Loop: Header=BB6_913 Depth=3
	s_delay_alu instid0(VALU_DEP_1) | instskip(SKIP_2) | instid1(VALU_DEP_2)
	v_lshlrev_b64 v[8:9], 3, v[8:9]
	v_and_b32_e32 v2, 0x2000, v30
	s_mov_b32 s4, exec_lo
	v_add_co_u32 v8, vcc_lo, v68, v8
	s_delay_alu instid0(VALU_DEP_3)
	v_add_co_ci_u32_e32 v9, vcc_lo, v69, v9, vcc_lo
	ds_store_b64 v0, v[8:9]
	v_cmpx_ne_u32_e32 0, v2
	s_cbranch_execz .LBB6_942
; %bb.941:                              ;   in Loop: Header=BB6_913 Depth=3
	ds_load_b64 v[8:9], v0 offset:584
	s_waitcnt lgkmcnt(0)
	v_add_co_u32 v8, vcc_lo, v8, 1
	v_add_co_ci_u32_e32 v9, vcc_lo, 0, v9, vcc_lo
	ds_store_b64 v0, v[8:9] offset:584
.LBB6_942:                              ;   in Loop: Header=BB6_913 Depth=3
	s_or_b32 exec_lo, exec_lo, s4
	v_add_co_u32 v66, vcc_lo, v66, 2
	v_add_co_ci_u32_e32 v67, vcc_lo, 0, v67, vcc_lo
.LBB6_943:                              ;   in Loop: Header=BB6_913 Depth=3
	s_or_b32 exec_lo, exec_lo, s2
	s_and_saveexec_b32 s2, s3
	s_cbranch_execz .LBB6_965
; %bb.944:                              ;   in Loop: Header=BB6_913 Depth=3
	s_and_saveexec_b32 s4, s41
	s_delay_alu instid0(SALU_CYCLE_1)
	s_xor_b32 s4, exec_lo, s4
	s_cbranch_execz .LBB6_962
; %bb.945:                              ;   in Loop: Header=BB6_913 Depth=3
	s_and_saveexec_b32 s11, s1
	s_cbranch_execz .LBB6_961
; %bb.946:                              ;   in Loop: Header=BB6_913 Depth=3
	s_mov_b32 s14, exec_lo
	s_mov_b32 s13, exec_lo
	v_mbcnt_lo_u32_b32 v2, s14, 0
	s_waitcnt lgkmcnt(0)
	s_waitcnt_vscnt null, 0x0
	buffer_gl1_inv
	buffer_gl0_inv
	v_cmpx_eq_u32_e32 0, v2
	s_cbranch_execz .LBB6_948
; %bb.947:                              ;   in Loop: Header=BB6_913 Depth=3
	s_bcnt1_i32_b32 s14, s14
	s_delay_alu instid0(SALU_CYCLE_1)
	v_mov_b32_e32 v2, s14
	ds_add_u64 v0, v[2:3]
	s_cbranch_execnz .LBB6_1778
.LBB6_948:                              ;   in Loop: Header=BB6_913 Depth=3
	s_or_b32 exec_lo, exec_lo, s13
	s_cbranch_execnz .LBB6_1750
; %bb.949:                              ;   in Loop: Header=BB6_913 Depth=3
	ds_load_b64 v[8:9], v0
	v_add_co_u32 v80, vcc_lo, v80, v147
	v_add_co_ci_u32_e32 v81, vcc_lo, 0, v81, vcc_lo
	s_mov_b32 s13, exec_lo
	s_waitcnt lgkmcnt(0)
	s_delay_alu instid0(VALU_DEP_1)
	v_cmpx_lt_u64_e64 v[8:9], v[80:81]
	s_cbranch_execz .LBB6_960
; %bb.950:                              ;   in Loop: Header=BB6_913 Depth=3
	s_mov_b32 s14, 0
	s_mov_b32 s38, 0
                                        ; implicit-def: $sgpr15
                                        ; implicit-def: $sgpr37
	s_branch .LBB6_952
.LBB6_951:                              ;   in Loop: Header=BB6_952 Depth=4
	s_or_b32 exec_lo, exec_lo, s40
	s_delay_alu instid0(SALU_CYCLE_1) | instskip(NEXT) | instid1(SALU_CYCLE_1)
	s_and_b32 vcc_lo, exec_lo, vcc_lo
	s_or_b32 s14, vcc_lo, s14
	s_and_not1_b32 s15, s15, exec_lo
	s_and_b32 vcc_lo, s37, exec_lo
	s_delay_alu instid0(SALU_CYCLE_1)
	s_or_b32 s15, s15, vcc_lo
	s_and_not1_b32 exec_lo, exec_lo, s14
	s_cbranch_execz .LBB6_958
.LBB6_952:                              ;   Parent Loop BB6_55 Depth=1
                                        ;     Parent Loop BB6_911 Depth=2
                                        ;       Parent Loop BB6_913 Depth=3
                                        ; =>      This Inner Loop Header: Depth=4
	s_add_i32 s38, s38, 1
                                        ; implicit-def: $sgpr40
	s_delay_alu instid0(SALU_CYCLE_1) | instskip(SKIP_1) | instid1(SALU_CYCLE_1)
	s_cmpk_lg_i32 s38, 0x2710
	s_cselect_b32 s39, -1, 0
	s_and_b32 vcc_lo, exec_lo, s39
	s_cbranch_vccz .LBB6_956
.LBB6_953:                              ;   in Loop: Header=BB6_952 Depth=4
	s_and_not1_b32 s37, s37, exec_lo
	s_and_b32 s40, s40, exec_lo
	s_mov_b32 vcc_lo, -1
	s_or_b32 s37, s37, s40
	s_and_saveexec_b32 s40, s39
	s_cbranch_execz .LBB6_951
; %bb.954:                              ;   in Loop: Header=BB6_952 Depth=4
	s_sleep 1
	s_cbranch_execnz .LBB6_1830
; %bb.955:                              ;   in Loop: Header=BB6_952 Depth=4
	ds_load_b64 v[8:9], v0
	s_and_not1_b32 s37, s37, exec_lo
	s_waitcnt lgkmcnt(0)
	v_cmp_ge_u64_e32 vcc_lo, v[8:9], v[80:81]
	s_or_not1_b32 vcc_lo, vcc_lo, exec_lo
	s_branch .LBB6_951
.LBB6_956:                              ;   in Loop: Header=BB6_952 Depth=4
	s_cbranch_execnz .LBB6_1848
; %bb.957:                              ;   in Loop: Header=BB6_952 Depth=4
	ds_load_b64 v[8:9], v0
	s_and_not1_b32 s39, s39, exec_lo
	s_mov_b32 s38, 0
	s_mov_b32 s40, -1
	s_waitcnt lgkmcnt(0)
	flat_load_b32 v2, v[8:9] glc
	s_waitcnt vmcnt(0) lgkmcnt(0)
	buffer_gl1_inv
	buffer_gl0_inv
	v_cmp_eq_u32_e32 vcc_lo, 0, v2
	s_and_b32 vcc_lo, vcc_lo, exec_lo
	s_delay_alu instid0(SALU_CYCLE_1)
	s_or_b32 s39, s39, vcc_lo
	s_branch .LBB6_953
.LBB6_958:                              ;   in Loop: Header=BB6_913 Depth=3
	s_or_b32 exec_lo, exec_lo, s14
	s_and_saveexec_b32 s14, s15
	s_delay_alu instid0(SALU_CYCLE_1)
	s_xor_b32 s14, exec_lo, s14
	s_cbranch_execz .LBB6_960
; %bb.959:                              ;   in Loop: Header=BB6_913 Depth=3
	ds_store_b32 v0, v41
	s_cbranch_execnz .LBB6_1962
.LBB6_960:                              ;   in Loop: Header=BB6_913 Depth=3
	s_or_b32 exec_lo, exec_lo, s13
	;;#ASMSTART
	s_wakeup
	;;#ASMEND
.LBB6_961:                              ;   in Loop: Header=BB6_913 Depth=3
	s_or_b32 exec_lo, exec_lo, s11
.LBB6_962:                              ;   in Loop: Header=BB6_913 Depth=3
	s_and_not1_saveexec_b32 s4, s4
	s_cbranch_execz .LBB6_964
; %bb.963:                              ;   in Loop: Header=BB6_913 Depth=3
	s_waitcnt lgkmcnt(0)
	s_waitcnt_vscnt null, 0x0
	buffer_gl1_inv
	buffer_gl0_inv
	s_barrier
.LBB6_964:                              ;   in Loop: Header=BB6_913 Depth=3
	s_or_b32 exec_lo, exec_lo, s4
.LBB6_965:                              ;   in Loop: Header=BB6_913 Depth=3
	s_delay_alu instid0(SALU_CYCLE_1)
	s_or_b32 exec_lo, exec_lo, s2
	s_cbranch_execnz .LBB6_1614
; %bb.966:                              ;   in Loop: Header=BB6_913 Depth=3
	ds_load_b32 v8, v0
	v_and_b32_e32 v2, 0x4000, v30
	v_readlane_b32 s2, v74, 0
	s_delay_alu instid0(VALU_DEP_2) | instskip(NEXT) | instid1(VALU_DEP_2)
	v_cmp_ne_u32_e32 vcc_lo, 0, v2
	s_xor_b32 s2, s2, -1
	s_delay_alu instid0(SALU_CYCLE_1) | instskip(NEXT) | instid1(SALU_CYCLE_1)
	s_and_b32 s4, s2, vcc_lo
	s_and_saveexec_b32 s2, s4
	s_cbranch_execz .LBB6_988
; %bb.967:                              ;   in Loop: Header=BB6_913 Depth=3
	s_and_saveexec_b32 s4, s41
	s_delay_alu instid0(SALU_CYCLE_1)
	s_xor_b32 s4, exec_lo, s4
	s_cbranch_execz .LBB6_985
; %bb.968:                              ;   in Loop: Header=BB6_913 Depth=3
	s_and_saveexec_b32 s11, s1
	s_cbranch_execz .LBB6_984
; %bb.969:                              ;   in Loop: Header=BB6_913 Depth=3
	s_mov_b32 s14, exec_lo
	s_mov_b32 s13, exec_lo
	v_mbcnt_lo_u32_b32 v2, s14, 0
	s_waitcnt lgkmcnt(0)
	s_waitcnt_vscnt null, 0x0
	buffer_gl1_inv
	buffer_gl0_inv
	v_cmpx_eq_u32_e32 0, v2
	s_cbranch_execz .LBB6_971
; %bb.970:                              ;   in Loop: Header=BB6_913 Depth=3
	s_bcnt1_i32_b32 s14, s14
	s_delay_alu instid0(SALU_CYCLE_1)
	v_mov_b32_e32 v2, s14
	ds_add_u64 v0, v[2:3]
	s_cbranch_execnz .LBB6_1820
.LBB6_971:                              ;   in Loop: Header=BB6_913 Depth=3
	s_or_b32 exec_lo, exec_lo, s13
	s_cbranch_execnz .LBB6_1800
; %bb.972:                              ;   in Loop: Header=BB6_913 Depth=3
	ds_load_b64 v[9:10], v0
	v_add_co_u32 v80, vcc_lo, v80, v147
	v_add_co_ci_u32_e32 v81, vcc_lo, 0, v81, vcc_lo
	s_mov_b32 s13, exec_lo
	s_waitcnt lgkmcnt(0)
	s_delay_alu instid0(VALU_DEP_1)
	v_cmpx_lt_u64_e64 v[9:10], v[80:81]
	s_cbranch_execz .LBB6_983
; %bb.973:                              ;   in Loop: Header=BB6_913 Depth=3
	s_mov_b32 s14, 0
	s_mov_b32 s38, 0
                                        ; implicit-def: $sgpr15
                                        ; implicit-def: $sgpr37
	s_branch .LBB6_975
.LBB6_974:                              ;   in Loop: Header=BB6_975 Depth=4
	s_or_b32 exec_lo, exec_lo, s40
	s_delay_alu instid0(SALU_CYCLE_1) | instskip(NEXT) | instid1(SALU_CYCLE_1)
	s_and_b32 vcc_lo, exec_lo, vcc_lo
	s_or_b32 s14, vcc_lo, s14
	s_and_not1_b32 s15, s15, exec_lo
	s_and_b32 vcc_lo, s37, exec_lo
	s_delay_alu instid0(SALU_CYCLE_1)
	s_or_b32 s15, s15, vcc_lo
	s_and_not1_b32 exec_lo, exec_lo, s14
	s_cbranch_execz .LBB6_981
.LBB6_975:                              ;   Parent Loop BB6_55 Depth=1
                                        ;     Parent Loop BB6_911 Depth=2
                                        ;       Parent Loop BB6_913 Depth=3
                                        ; =>      This Inner Loop Header: Depth=4
	s_add_i32 s38, s38, 1
                                        ; implicit-def: $sgpr40
	s_delay_alu instid0(SALU_CYCLE_1) | instskip(SKIP_1) | instid1(SALU_CYCLE_1)
	s_cmpk_lg_i32 s38, 0x2710
	s_cselect_b32 s39, -1, 0
	s_and_b32 vcc_lo, exec_lo, s39
	s_cbranch_vccz .LBB6_979
.LBB6_976:                              ;   in Loop: Header=BB6_975 Depth=4
	s_and_not1_b32 s37, s37, exec_lo
	s_and_b32 s40, s40, exec_lo
	s_mov_b32 vcc_lo, -1
	s_or_b32 s37, s37, s40
	s_and_saveexec_b32 s40, s39
	s_cbranch_execz .LBB6_974
; %bb.977:                              ;   in Loop: Header=BB6_975 Depth=4
	s_sleep 1
	s_cbranch_execnz .LBB6_1884
; %bb.978:                              ;   in Loop: Header=BB6_975 Depth=4
	ds_load_b64 v[9:10], v0
	s_and_not1_b32 s37, s37, exec_lo
	s_waitcnt lgkmcnt(0)
	v_cmp_ge_u64_e32 vcc_lo, v[9:10], v[80:81]
	s_or_not1_b32 vcc_lo, vcc_lo, exec_lo
	s_branch .LBB6_974
.LBB6_979:                              ;   in Loop: Header=BB6_975 Depth=4
	s_cbranch_execnz .LBB6_1892
; %bb.980:                              ;   in Loop: Header=BB6_975 Depth=4
	ds_load_b64 v[9:10], v0
	s_and_not1_b32 s39, s39, exec_lo
	s_mov_b32 s38, 0
	s_mov_b32 s40, -1
	s_waitcnt lgkmcnt(0)
	flat_load_b32 v2, v[9:10] glc
	s_waitcnt vmcnt(0) lgkmcnt(0)
	buffer_gl1_inv
	buffer_gl0_inv
	v_cmp_eq_u32_e32 vcc_lo, 0, v2
	s_and_b32 vcc_lo, vcc_lo, exec_lo
	s_delay_alu instid0(SALU_CYCLE_1)
	s_or_b32 s39, s39, vcc_lo
	s_branch .LBB6_976
.LBB6_981:                              ;   in Loop: Header=BB6_913 Depth=3
	s_or_b32 exec_lo, exec_lo, s14
	s_and_saveexec_b32 s14, s15
	s_delay_alu instid0(SALU_CYCLE_1)
	s_xor_b32 s14, exec_lo, s14
	s_cbranch_execz .LBB6_983
; %bb.982:                              ;   in Loop: Header=BB6_913 Depth=3
	ds_store_b32 v0, v41
	s_cbranch_execnz .LBB6_1976
.LBB6_983:                              ;   in Loop: Header=BB6_913 Depth=3
	s_or_b32 exec_lo, exec_lo, s13
	;;#ASMSTART
	s_wakeup
	;;#ASMEND
.LBB6_984:                              ;   in Loop: Header=BB6_913 Depth=3
	s_or_b32 exec_lo, exec_lo, s11
.LBB6_985:                              ;   in Loop: Header=BB6_913 Depth=3
	s_and_not1_saveexec_b32 s4, s4
	s_cbranch_execz .LBB6_987
; %bb.986:                              ;   in Loop: Header=BB6_913 Depth=3
	s_waitcnt lgkmcnt(0)
	s_waitcnt_vscnt null, 0x0
	buffer_gl1_inv
	buffer_gl0_inv
	s_barrier
.LBB6_987:                              ;   in Loop: Header=BB6_913 Depth=3
	s_or_b32 exec_lo, exec_lo, s4
.LBB6_988:                              ;   in Loop: Header=BB6_913 Depth=3
	s_delay_alu instid0(SALU_CYCLE_1)
	s_or_b32 exec_lo, exec_lo, s2
	s_cbranch_execnz .LBB6_1670
; %bb.989:                              ;   in Loop: Header=BB6_913 Depth=3
	ds_load_b64 v[9:10], v0
	v_mov_b32_e32 v13, 0
	s_waitcnt lgkmcnt(0)
	v_cmp_eq_u64_e32 vcc_lo, 0, v[9:10]
	s_or_b32 s2, vcc_lo, vcc_lo
	s_delay_alu instid0(SALU_CYCLE_1)
	s_and_b32 vcc_lo, exec_lo, s2
	s_cbranch_vccnz .LBB6_1064
; %bb.990:                              ;   in Loop: Header=BB6_913 Depth=3
	v_cmp_eq_u32_e32 vcc_lo, 0, v8
	s_cbranch_execnz .LBB6_1744
; %bb.991:                              ;   in Loop: Header=BB6_913 Depth=3
	ds_load_b64 v[8:9], v0
	v_cndmask_b32_e32 v13, 0, v12, vcc_lo
	s_mov_b32 s2, -1
	s_delay_alu instid0(VALU_DEP_1)
	v_lshlrev_b32_e32 v2, 3, v13
	s_waitcnt lgkmcnt(0)
	v_cmp_ne_u64_e32 vcc_lo, 0, v[8:9]
	s_cbranch_vccz .LBB6_1029
; %bb.992:                              ;   in Loop: Header=BB6_913 Depth=3
	s_and_saveexec_b32 s4, s6
	s_cbranch_execz .LBB6_994
; %bb.993:                              ;   in Loop: Header=BB6_913 Depth=3
	ds_load_b32 v8, v0 offset:720
	s_waitcnt lgkmcnt(0)
	v_and_b32_e32 v8, 15, v8
	s_delay_alu instid0(VALU_DEP_1)
	v_cmp_eq_u32_e32 vcc_lo, 0, v8
	s_or_not1_b32 s2, vcc_lo, exec_lo
.LBB6_994:                              ;   in Loop: Header=BB6_913 Depth=3
	s_or_b32 exec_lo, exec_lo, s4
	s_and_saveexec_b32 s4, s12
	s_cbranch_execz .LBB6_996
; %bb.995:                              ;   in Loop: Header=BB6_913 Depth=3
	ds_load_b32 v8, v0 offset:784
	s_waitcnt lgkmcnt(0)
	v_and_b32_e32 v8, 15, v8
	s_delay_alu instid0(VALU_DEP_1) | instskip(SKIP_3) | instid1(SALU_CYCLE_1)
	v_cmp_eq_u32_e32 vcc_lo, 0, v8
	s_and_b32 s11, s2, vcc_lo
	s_and_not1_b32 s2, s2, exec_lo
	s_and_b32 s11, s11, exec_lo
	s_or_b32 s2, s2, s11
.LBB6_996:                              ;   in Loop: Header=BB6_913 Depth=3
	s_or_b32 exec_lo, exec_lo, s4
	s_xor_b32 s2, s2, -1
	v_mov_b32_e32 v15, 0
	v_cndmask_b32_e64 v8, 0, 1, s2
	;;#ASMSTART
	;;#ASMEND
	s_delay_alu instid0(VALU_DEP_1)
	v_cmp_ne_u32_e32 vcc_lo, 0, v8
	v_dual_mov_b32 v8, v148 :: v_dual_mov_b32 v21, v2
	v_mov_b32_e32 v23, v0
	s_mov_b32 s4, -1
	s_cbranch_vccnz .LBB6_1014
; %bb.997:                              ;   in Loop: Header=BB6_913 Depth=3
	v_ashrrev_i32_e32 v8, 31, v2
	s_mov_b32 s2, exec_lo
	s_delay_alu instid0(VALU_DEP_1) | instskip(NEXT) | instid1(VALU_DEP_1)
	v_lshrrev_b32_e32 v8, 21, v8
	v_add_nc_u32_e32 v8, v2, v8
	s_delay_alu instid0(VALU_DEP_1) | instskip(NEXT) | instid1(VALU_DEP_1)
	v_ashrrev_i32_e32 v15, 11, v8
	v_sub_nc_u32_e32 v24, v15, v148
	s_delay_alu instid0(VALU_DEP_1)
	v_cmpx_lt_i32_e32 0, v24
	s_cbranch_execz .LBB6_1002
; %bb.998:                              ;   in Loop: Header=BB6_913 Depth=3
	s_cbranch_execnz .LBB6_1906
; %bb.999:                              ;   in Loop: Header=BB6_913 Depth=3
	ds_load_b64 v[8:9], v0
	ds_load_b128 v[32:35], v0
	s_mov_b32 s4, 0
	s_waitcnt lgkmcnt(1)
	v_add_co_u32 v8, vcc_lo, v8, v182
	v_add_co_ci_u32_e32 v9, vcc_lo, v9, v183, vcc_lo
	s_waitcnt lgkmcnt(0)
	v_add_co_u32 v10, vcc_lo, v32, v182
	v_add_co_ci_u32_e32 v11, vcc_lo, v33, v183, vcc_lo
	v_add_co_u32 v18, vcc_lo, v34, v182
	v_add_co_ci_u32_e32 v19, vcc_lo, v35, v183, vcc_lo
	s_set_inst_prefetch_distance 0x1
.LBB6_1000:                             ;   Parent Loop BB6_55 Depth=1
                                        ;     Parent Loop BB6_911 Depth=2
                                        ;       Parent Loop BB6_913 Depth=3
                                        ; =>      This Inner Loop Header: Depth=4
	s_clause 0x3
	global_load_b128 v[32:35], v[8:9], off slc dlc
	global_load_b128 v[36:39], v[8:9], off offset:512 slc dlc
	global_load_b128 v[48:51], v[8:9], off offset:1024 slc dlc
	;; [unrolled: 1-line block ×3, first 2 shown]
	v_mov_b32_e32 v21, v40
	v_mov_b32_e32 v22, v116
	v_sub_nc_u32_e32 v24, v24, v147
	s_waitcnt vmcnt(3)
	global_store_b128 v[10:11], v[32:35], off glc slc dlc
	s_waitcnt vmcnt(2)
	global_store_b128 v[10:11], v[36:39], off offset:512 glc slc dlc
	s_waitcnt vmcnt(1)
	global_store_b128 v[10:11], v[48:51], off offset:1024 glc slc dlc
	;; [unrolled: 2-line block ×3, first 2 shown]
	s_clause 0x3
	global_store_b128 v[18:19], v[32:35], off glc slc dlc
	global_store_b128 v[18:19], v[36:39], off offset:512 glc slc dlc
	global_store_b128 v[18:19], v[48:51], off offset:1024 glc slc dlc
	;; [unrolled: 1-line block ×3, first 2 shown]
	v_add_co_u32 v8, vcc_lo, v8, v21
	v_add_co_u32 v10, s13, v10, v21
	v_add_co_ci_u32_e32 v9, vcc_lo, v9, v22, vcc_lo
	v_add_co_ci_u32_e64 v11, s13, v11, v22, s13
	v_cmp_gt_i32_e32 vcc_lo, 1, v24
	v_add_co_u32 v18, s13, v18, v21
	s_delay_alu instid0(VALU_DEP_1) | instskip(SKIP_1) | instid1(SALU_CYCLE_1)
	v_add_co_ci_u32_e64 v19, s13, v19, v22, s13
	s_or_b32 s4, vcc_lo, s4
	s_and_not1_b32 exec_lo, exec_lo, s4
	s_cbranch_execnz .LBB6_1000
; %bb.1001:                             ;   in Loop: Header=BB6_913 Depth=3
	s_set_inst_prefetch_distance 0x2
	s_or_b32 exec_lo, exec_lo, s4
.LBB6_1002:                             ;   in Loop: Header=BB6_913 Depth=3
	s_delay_alu instid0(SALU_CYCLE_1) | instskip(SKIP_3) | instid1(VALU_DEP_1)
	s_or_b32 exec_lo, exec_lo, s2
	v_dual_mov_b32 v15, 0 :: v_dual_lshlrev_b32 v22, 11, v15
	s_mov_b32 s4, 0
	s_mov_b32 s2, exec_lo
                                        ; implicit-def: $vgpr21
                                        ; implicit-def: $vgpr23
                                        ; implicit-def: $vgpr8
	v_cmpx_ne_u32_e64 v2, v22
	s_cbranch_execz .LBB6_1013
; %bb.1003:                             ;   in Loop: Header=BB6_913 Depth=3
	v_lshlrev_b32_e32 v8, 5, v24
	v_sub_nc_u32_e32 v10, v2, v22
	s_mov_b32 s4, exec_lo
	s_delay_alu instid0(VALU_DEP_2) | instskip(NEXT) | instid1(VALU_DEP_2)
	v_sub_nc_u32_e32 v8, v149, v8
	v_ashrrev_i32_e32 v11, 31, v10
	s_delay_alu instid0(VALU_DEP_2) | instskip(NEXT) | instid1(VALU_DEP_2)
	v_ashrrev_i32_e32 v9, 31, v8
	v_lshrrev_b32_e32 v11, 23, v11
	s_delay_alu instid0(VALU_DEP_2) | instskip(NEXT) | instid1(VALU_DEP_2)
	v_lshrrev_b32_e32 v9, 27, v9
	v_add_nc_u32_e32 v11, v10, v11
	s_delay_alu instid0(VALU_DEP_2) | instskip(NEXT) | instid1(VALU_DEP_2)
	v_add_nc_u32_e32 v9, v8, v9
	v_and_b32_e32 v24, 0xfffffe00, v11
	v_ashrrev_i32_e32 v11, 9, v11
	s_delay_alu instid0(VALU_DEP_3) | instskip(NEXT) | instid1(VALU_DEP_3)
	v_and_b32_e32 v15, 0xffffffe0, v9
	v_sub_nc_u32_e32 v26, v10, v24
	v_ashrrev_i32_e32 v9, 5, v9
	s_delay_alu instid0(VALU_DEP_3) | instskip(NEXT) | instid1(VALU_DEP_3)
	v_sub_nc_u32_e32 v25, v8, v15
	v_cmp_lt_i32_e64 s13, 15, v26
	s_delay_alu instid0(VALU_DEP_2) | instskip(NEXT) | instid1(VALU_DEP_2)
	v_lshlrev_b32_e32 v8, 4, v25
	v_add_co_ci_u32_e64 v11, vcc_lo, 0, v11, s13
	s_delay_alu instid0(VALU_DEP_2) | instskip(NEXT) | instid1(VALU_DEP_2)
	v_lshl_add_u32 v8, v9, 9, v8
	v_sub_nc_u32_e32 v27, v11, v9
	s_delay_alu instid0(VALU_DEP_2) | instskip(NEXT) | instid1(VALU_DEP_1)
	v_sub_nc_u32_e32 v15, v10, v8
	v_cmpx_lt_i32_e32 15, v15
	s_cbranch_execz .LBB6_1010
; %bb.1004:                             ;   in Loop: Header=BB6_913 Depth=3
	s_cbranch_execnz .LBB6_1944
; %bb.1005:                             ;   in Loop: Header=BB6_913 Depth=3
	ds_load_b64 v[9:10], v0
	ds_load_b128 v[32:35], v0
	v_add_nc_u32_e32 v8, v8, v22
	s_mov_b32 s11, 0
	s_delay_alu instid0(VALU_DEP_1) | instskip(SKIP_2) | instid1(VALU_DEP_2)
	v_ashrrev_i32_e32 v11, 31, v8
	s_waitcnt lgkmcnt(1)
	v_add_co_u32 v18, vcc_lo, v9, v8
	v_add_co_ci_u32_e32 v19, vcc_lo, v10, v11, vcc_lo
	s_waitcnt lgkmcnt(0)
	v_add_co_u32 v21, vcc_lo, v32, v8
	v_add_co_ci_u32_e32 v23, vcc_lo, v33, v11, vcc_lo
	v_add_co_u32 v32, vcc_lo, v34, v8
	v_add_co_ci_u32_e32 v33, vcc_lo, v35, v11, vcc_lo
.LBB6_1006:                             ;   Parent Loop BB6_55 Depth=1
                                        ;     Parent Loop BB6_911 Depth=2
                                        ;       Parent Loop BB6_913 Depth=3
                                        ; =>      This Loop Header: Depth=4
                                        ;           Child Loop BB6_1007 Depth 5
	global_load_b128 v[8:11], v[18:19], off slc dlc
	s_mov_b64 s[14:15], 0
	s_mov_b32 s37, -1
.LBB6_1007:                             ;   Parent Loop BB6_55 Depth=1
                                        ;     Parent Loop BB6_911 Depth=2
                                        ;       Parent Loop BB6_913 Depth=3
                                        ;         Parent Loop BB6_1006 Depth=4
                                        ; =>        This Inner Loop Header: Depth=5
	s_cmp_eq_u32 s14, 0
	v_cndmask_b32_e64 v36, 0, 1, s37
	s_cselect_b32 vcc_lo, -1, 0
	s_cmp_eq_u32 s14, 1
	s_mov_b32 s37, 0
	s_cselect_b32 s14, -1, 0
	s_delay_alu instid0(SALU_CYCLE_1) | instskip(SKIP_1) | instid1(VALU_DEP_2)
	v_cndmask_b32_e64 v34, v21, v32, s14
	v_cndmask_b32_e64 v35, v23, v33, s14
	v_add_co_u32 v37, s15, 0x200, v34
	s_delay_alu instid0(VALU_DEP_1) | instskip(SKIP_1) | instid1(VALU_DEP_3)
	v_add_co_ci_u32_e64 v38, s15, 0, v35, s15
	v_cmp_ne_u32_e64 s15, 1, v36
	v_cndmask_b32_e64 v32, v32, v37, s14
	v_cndmask_b32_e32 v21, v21, v37, vcc_lo
	s_delay_alu instid0(VALU_DEP_4)
	v_cndmask_b32_e64 v33, v33, v38, s14
	v_cndmask_b32_e32 v23, v23, v38, vcc_lo
	s_and_b32 vcc_lo, exec_lo, s15
	s_mov_b64 s[14:15], 1
	s_waitcnt vmcnt(0)
	global_store_b128 v[34:35], v[8:11], off glc slc dlc
	s_cbranch_vccz .LBB6_1007
; %bb.1008:                             ;   in Loop: Header=BB6_1006 Depth=4
	v_add_co_u32 v21, vcc_lo, v21, v161
	v_sub_nc_u32_e32 v15, v15, v151
	v_add_co_ci_u32_e32 v23, vcc_lo, v23, v164, vcc_lo
	v_add_co_u32 v32, vcc_lo, v32, v161
	v_add_co_ci_u32_e32 v33, vcc_lo, v33, v164, vcc_lo
	s_delay_alu instid0(VALU_DEP_4) | instskip(SKIP_1) | instid1(VALU_DEP_1)
	v_cmp_gt_i32_e32 vcc_lo, 16, v15
	v_add_co_u32 v18, s14, v166, v18
	v_add_co_ci_u32_e64 v19, s14, v167, v19, s14
	v_sub_nc_u32_e32 v27, v27, v147
	s_or_b32 s11, vcc_lo, s11
	s_delay_alu instid0(SALU_CYCLE_1)
	s_and_not1_b32 exec_lo, exec_lo, s11
	s_cbranch_execnz .LBB6_1006
; %bb.1009:                             ;   in Loop: Header=BB6_913 Depth=3
	s_or_b32 exec_lo, exec_lo, s11
.LBB6_1010:                             ;   in Loop: Header=BB6_913 Depth=3
	s_delay_alu instid0(SALU_CYCLE_1) | instskip(SKIP_4) | instid1(VALU_DEP_2)
	s_or_b32 exec_lo, exec_lo, s4
	v_and_b32_e32 v9, 8, v2
	v_mov_b32_e32 v15, 0
	s_mov_b32 s4, 0
	s_mov_b32 s11, exec_lo
                                        ; implicit-def: $vgpr23
                                        ; implicit-def: $vgpr8
	v_cndmask_b32_e64 v21, v26, v9, s13
	s_delay_alu instid0(VALU_DEP_1)
	v_cmpx_ne_u32_e32 0, v21
	s_cbranch_execz .LBB6_1012
; %bb.1011:                             ;   in Loop: Header=BB6_913 Depth=3
	v_cmp_lt_i32_e32 vcc_lo, 0, v27
	v_sub_nc_u32_e32 v9, v26, v9
	s_mov_b32 s4, exec_lo
	v_cndmask_b32_e32 v8, 0, v147, vcc_lo
	s_delay_alu instid0(VALU_DEP_2) | instskip(NEXT) | instid1(VALU_DEP_2)
	v_cndmask_b32_e64 v9, 0, v9, s13
	v_sub_nc_u32_e32 v8, v8, v27
	s_delay_alu instid0(VALU_DEP_2) | instskip(NEXT) | instid1(VALU_DEP_2)
	v_add3_u32 v15, v24, v22, v9
	v_lshl_add_u32 v23, v8, 5, v25
	s_delay_alu instid0(VALU_DEP_1) | instskip(NEXT) | instid1(VALU_DEP_1)
	v_ashrrev_i32_e32 v8, 31, v23
	v_lshrrev_b32_e32 v8, 27, v8
	s_delay_alu instid0(VALU_DEP_1) | instskip(NEXT) | instid1(VALU_DEP_1)
	v_add_nc_u32_e32 v8, v23, v8
	v_ashrrev_i32_e32 v8, 5, v8
.LBB6_1012:                             ;   in Loop: Header=BB6_913 Depth=3
	s_or_b32 exec_lo, exec_lo, s11
	s_delay_alu instid0(SALU_CYCLE_1)
	s_and_b32 s4, s4, exec_lo
.LBB6_1013:                             ;   in Loop: Header=BB6_913 Depth=3
	s_or_b32 exec_lo, exec_lo, s2
.LBB6_1014:                             ;   in Loop: Header=BB6_913 Depth=3
	s_and_saveexec_b32 s2, s4
	s_cbranch_execz .LBB6_1028
; %bb.1015:                             ;   in Loop: Header=BB6_913 Depth=3
	v_ashrrev_i32_e32 v9, 31, v21
	s_mov_b32 s4, exec_lo
	s_delay_alu instid0(VALU_DEP_1) | instskip(NEXT) | instid1(VALU_DEP_1)
	v_lshrrev_b32_e32 v9, 22, v9
	v_add_nc_u32_e32 v9, v21, v9
	s_delay_alu instid0(VALU_DEP_1) | instskip(NEXT) | instid1(VALU_DEP_1)
	v_ashrrev_i32_e32 v24, 10, v9
	v_sub_nc_u32_e32 v22, v24, v8
	s_delay_alu instid0(VALU_DEP_1)
	v_cmpx_lt_i32_e32 0, v22
	s_cbranch_execz .LBB6_1020
; %bb.1016:                             ;   in Loop: Header=BB6_913 Depth=3
	s_cbranch_execnz .LBB6_1902
; %bb.1017:                             ;   in Loop: Header=BB6_913 Depth=3
	v_ashrrev_i32_e32 v9, 31, v23
	v_lshlrev_b32_e32 v8, 10, v8
	s_mov_b32 s11, 0
	ds_load_b128 v[32:35], v0
	v_lshrrev_b32_e32 v9, 27, v9
	s_delay_alu instid0(VALU_DEP_1) | instskip(NEXT) | instid1(VALU_DEP_1)
	v_add_nc_u32_e32 v9, v23, v9
	v_and_b32_e32 v11, 0x1fffffe0, v9
	ds_load_b64 v[9:10], v0
	v_sub_nc_u32_e32 v11, v23, v11
	s_delay_alu instid0(VALU_DEP_1) | instskip(NEXT) | instid1(VALU_DEP_1)
	v_lshlrev_b32_e32 v11, 3, v11
	v_add3_u32 v18, v11, v15, v8
	s_delay_alu instid0(VALU_DEP_1) | instskip(SKIP_2) | instid1(VALU_DEP_2)
	v_ashrrev_i32_e32 v19, 31, v18
	s_waitcnt lgkmcnt(0)
	v_add_co_u32 v8, vcc_lo, v9, v18
	v_add_co_ci_u32_e32 v9, vcc_lo, v10, v19, vcc_lo
	v_add_co_u32 v10, vcc_lo, v32, v18
	v_add_co_ci_u32_e32 v11, vcc_lo, v33, v19, vcc_lo
	;; [unrolled: 2-line block ×3, first 2 shown]
	s_set_inst_prefetch_distance 0x1
.LBB6_1018:                             ;   Parent Loop BB6_55 Depth=1
                                        ;     Parent Loop BB6_911 Depth=2
                                        ;       Parent Loop BB6_913 Depth=3
                                        ; =>      This Inner Loop Header: Depth=4
	s_clause 0x3
	flat_load_b64 v[25:26], v[8:9] slc dlc
	flat_load_b64 v[32:33], v[8:9] offset:256 slc dlc
	flat_load_b64 v[34:35], v[8:9] offset:512 slc dlc
	;; [unrolled: 1-line block ×3, first 2 shown]
	v_sub_nc_u32_e32 v22, v22, v147
	v_add_co_u32 v8, vcc_lo, v8, v177
	v_add_co_ci_u32_e32 v9, vcc_lo, v9, v178, vcc_lo
	s_delay_alu instid0(VALU_DEP_3)
	v_cmp_gt_i32_e32 vcc_lo, 1, v22
	s_waitcnt vmcnt(3) lgkmcnt(3)
	flat_store_b64 v[10:11], v[25:26] glc slc dlc
	s_waitcnt vmcnt(2) lgkmcnt(3)
	flat_store_b64 v[10:11], v[32:33] offset:256 glc slc dlc
	s_waitcnt vmcnt(1) lgkmcnt(3)
	flat_store_b64 v[10:11], v[34:35] offset:512 glc slc dlc
	;; [unrolled: 2-line block ×3, first 2 shown]
	s_clause 0x3
	flat_store_b64 v[18:19], v[25:26] glc slc dlc
	flat_store_b64 v[18:19], v[32:33] offset:256 glc slc dlc
	flat_store_b64 v[18:19], v[34:35] offset:512 glc slc dlc
	;; [unrolled: 1-line block ×3, first 2 shown]
	v_add_co_u32 v10, s13, v10, v177
	s_delay_alu instid0(VALU_DEP_1) | instskip(SKIP_1) | instid1(VALU_DEP_1)
	v_add_co_ci_u32_e64 v11, s13, v11, v178, s13
	v_add_co_u32 v18, s13, v18, v177
	v_add_co_ci_u32_e64 v19, s13, v19, v178, s13
	s_or_b32 s11, vcc_lo, s11
	s_delay_alu instid0(SALU_CYCLE_1)
	s_and_not1_b32 exec_lo, exec_lo, s11
	s_cbranch_execnz .LBB6_1018
; %bb.1019:                             ;   in Loop: Header=BB6_913 Depth=3
	s_set_inst_prefetch_distance 0x2
	s_or_b32 exec_lo, exec_lo, s11
.LBB6_1020:                             ;   in Loop: Header=BB6_913 Depth=3
	s_delay_alu instid0(SALU_CYCLE_1) | instskip(SKIP_2) | instid1(VALU_DEP_1)
	s_or_b32 exec_lo, exec_lo, s4
	v_lshlrev_b32_e32 v8, 10, v24
	s_mov_b32 s4, exec_lo
	v_cmpx_ne_u32_e64 v21, v8
	s_cbranch_execz .LBB6_1027
; %bb.1021:                             ;   in Loop: Header=BB6_913 Depth=3
	v_ashrrev_i32_e32 v9, 31, v23
	v_lshlrev_b32_e32 v10, 5, v22
	s_delay_alu instid0(VALU_DEP_2) | instskip(NEXT) | instid1(VALU_DEP_1)
	v_lshrrev_b32_e32 v9, 27, v9
	v_add_nc_u32_e32 v9, v23, v9
	s_delay_alu instid0(VALU_DEP_1) | instskip(NEXT) | instid1(VALU_DEP_1)
	v_and_b32_e32 v9, 0xffffffe0, v9
	v_sub_nc_u32_e32 v9, v23, v9
	s_delay_alu instid0(VALU_DEP_1) | instskip(NEXT) | instid1(VALU_DEP_1)
	v_sub_nc_u32_e32 v9, v9, v10
	v_ashrrev_i32_e32 v10, 31, v9
	s_delay_alu instid0(VALU_DEP_1) | instskip(NEXT) | instid1(VALU_DEP_1)
	v_lshrrev_b32_e32 v10, 27, v10
	v_add_nc_u32_e32 v10, v9, v10
	s_delay_alu instid0(VALU_DEP_1) | instskip(SKIP_1) | instid1(VALU_DEP_2)
	v_and_b32_e32 v11, 0x1fffffe0, v10
	v_lshlrev_b32_e32 v10, 3, v10
	v_sub_nc_u32_e32 v9, v9, v11
	s_delay_alu instid0(VALU_DEP_2) | instskip(NEXT) | instid1(VALU_DEP_2)
	v_and_b32_e32 v10, 0xffffff00, v10
	v_lshlrev_b32_e32 v9, 3, v9
	s_delay_alu instid0(VALU_DEP_1) | instskip(NEXT) | instid1(VALU_DEP_1)
	v_add3_u32 v8, v10, v9, v8
	v_sub_nc_u32_e32 v18, v21, v8
	s_delay_alu instid0(VALU_DEP_1)
	v_cmp_lt_i32_e32 vcc_lo, 7, v18
	s_and_b32 exec_lo, exec_lo, vcc_lo
	s_cbranch_execz .LBB6_1027
; %bb.1022:                             ;   in Loop: Header=BB6_913 Depth=3
	s_cbranch_execnz .LBB6_1938
; %bb.1023:                             ;   in Loop: Header=BB6_913 Depth=3
	ds_load_b64 v[9:10], v0
	ds_load_b128 v[21:24], v0
	v_add_nc_u32_e32 v11, v8, v15
	s_mov_b32 s11, 0
	s_delay_alu instid0(VALU_DEP_1) | instskip(SKIP_2) | instid1(VALU_DEP_2)
	v_ashrrev_i32_e32 v25, 31, v11
	s_waitcnt lgkmcnt(1)
	v_add_co_u32 v8, vcc_lo, v9, v11
	v_add_co_ci_u32_e32 v9, vcc_lo, v10, v25, vcc_lo
	s_waitcnt lgkmcnt(0)
	v_add_co_u32 v15, vcc_lo, v21, v11
	v_add_co_ci_u32_e32 v19, vcc_lo, v22, v25, vcc_lo
	v_add_co_u32 v21, vcc_lo, v23, v11
	v_add_co_ci_u32_e32 v22, vcc_lo, v24, v25, vcc_lo
	s_set_inst_prefetch_distance 0x1
.LBB6_1024:                             ;   Parent Loop BB6_55 Depth=1
                                        ;     Parent Loop BB6_911 Depth=2
                                        ;       Parent Loop BB6_913 Depth=3
                                        ; =>      This Loop Header: Depth=4
                                        ;           Child Loop BB6_1025 Depth 5
	flat_load_b64 v[10:11], v[8:9] slc dlc
	s_mov_b64 s[14:15], 0
	s_mov_b32 s13, -1
.LBB6_1025:                             ;   Parent Loop BB6_55 Depth=1
                                        ;     Parent Loop BB6_911 Depth=2
                                        ;       Parent Loop BB6_913 Depth=3
                                        ;         Parent Loop BB6_1024 Depth=4
                                        ; =>        This Inner Loop Header: Depth=5
	s_cmp_eq_u32 s14, 0
	v_cndmask_b32_e64 v25, 0, 1, s13
	s_cselect_b32 vcc_lo, -1, 0
	s_cmp_eq_u32 s14, 1
	s_cselect_b32 s13, -1, 0
	s_delay_alu instid0(SALU_CYCLE_1) | instskip(SKIP_1) | instid1(VALU_DEP_2)
	v_cndmask_b32_e64 v23, v15, v21, s13
	v_cndmask_b32_e64 v24, v19, v22, s13
	v_add_co_u32 v26, s14, 0x100, v23
	s_delay_alu instid0(VALU_DEP_1) | instskip(SKIP_1) | instid1(VALU_DEP_3)
	v_add_co_ci_u32_e64 v27, s14, 0, v24, s14
	v_cmp_ne_u32_e64 s14, 1, v25
	v_cndmask_b32_e64 v21, v21, v26, s13
	v_cndmask_b32_e32 v15, v15, v26, vcc_lo
	s_delay_alu instid0(VALU_DEP_4)
	v_cndmask_b32_e64 v22, v22, v27, s13
	v_cndmask_b32_e32 v19, v19, v27, vcc_lo
	s_mov_b32 s13, 0
	s_and_b32 vcc_lo, exec_lo, s14
	s_mov_b64 s[14:15], 1
	s_waitcnt vmcnt(0) lgkmcnt(0)
	flat_store_b64 v[23:24], v[10:11] glc slc dlc
	s_cbranch_vccz .LBB6_1025
; %bb.1026:                             ;   in Loop: Header=BB6_1024 Depth=4
	v_add_co_u32 v15, vcc_lo, v15, v176
	v_sub_nc_u32_e32 v18, v18, v165
	v_add_co_ci_u32_e32 v19, vcc_lo, v19, v179, vcc_lo
	v_add_co_u32 v21, vcc_lo, v21, v176
	v_add_co_ci_u32_e32 v22, vcc_lo, v22, v179, vcc_lo
	s_delay_alu instid0(VALU_DEP_4) | instskip(SKIP_1) | instid1(VALU_DEP_1)
	v_cmp_gt_i32_e32 vcc_lo, 8, v18
	v_add_co_u32 v8, s13, v180, v8
	v_add_co_ci_u32_e64 v9, s13, v181, v9, s13
	s_or_b32 s11, vcc_lo, s11
	s_delay_alu instid0(SALU_CYCLE_1)
	s_and_not1_b32 exec_lo, exec_lo, s11
	s_cbranch_execnz .LBB6_1024
.LBB6_1027:                             ;   in Loop: Header=BB6_913 Depth=3
	s_set_inst_prefetch_distance 0x2
	s_or_b32 exec_lo, exec_lo, s4
.LBB6_1028:                             ;   in Loop: Header=BB6_913 Depth=3
	s_delay_alu instid0(SALU_CYCLE_1)
	s_or_b32 exec_lo, exec_lo, s2
	s_mov_b32 s2, 0
.LBB6_1029:                             ;   in Loop: Header=BB6_913 Depth=3
	s_delay_alu instid0(SALU_CYCLE_1)
	s_and_b32 vcc_lo, exec_lo, s2
	s_cbranch_vccz .LBB6_1064
; %bb.1030:                             ;   in Loop: Header=BB6_913 Depth=3
	s_mov_b32 s2, -1
	s_and_saveexec_b32 s4, s6
	s_cbranch_execz .LBB6_1032
; %bb.1031:                             ;   in Loop: Header=BB6_913 Depth=3
	ds_load_b32 v8, v0 offset:720
	s_waitcnt lgkmcnt(0)
	v_and_b32_e32 v8, 15, v8
	s_delay_alu instid0(VALU_DEP_1)
	v_cmp_eq_u32_e32 vcc_lo, 0, v8
	s_or_not1_b32 s2, vcc_lo, exec_lo
.LBB6_1032:                             ;   in Loop: Header=BB6_913 Depth=3
	s_or_b32 exec_lo, exec_lo, s4
	s_and_saveexec_b32 s4, s5
	s_cbranch_execz .LBB6_1034
; %bb.1033:                             ;   in Loop: Header=BB6_913 Depth=3
	ds_load_b32 v8, v0 offset:784
	s_waitcnt lgkmcnt(0)
	v_and_b32_e32 v8, 15, v8
	s_delay_alu instid0(VALU_DEP_1) | instskip(SKIP_3) | instid1(SALU_CYCLE_1)
	v_cmp_eq_u32_e32 vcc_lo, 0, v8
	s_and_b32 s11, s2, vcc_lo
	s_and_not1_b32 s2, s2, exec_lo
	s_and_b32 s11, s11, exec_lo
	s_or_b32 s2, s2, s11
.LBB6_1034:                             ;   in Loop: Header=BB6_913 Depth=3
	s_or_b32 exec_lo, exec_lo, s4
	s_xor_b32 s2, s2, -1
	v_mov_b32_e32 v15, 0
	v_cndmask_b32_e64 v8, 0, 1, s2
	;;#ASMSTART
	;;#ASMEND
	s_delay_alu instid0(VALU_DEP_1)
	v_cmp_ne_u32_e32 vcc_lo, 0, v8
	s_mov_b32 s4, -1
	s_cbranch_vccz .LBB6_1036
; %bb.1035:                             ;   in Loop: Header=BB6_913 Depth=3
	v_mov_b32_e32 v18, v0
	v_mov_b32_e32 v22, v148
	s_branch .LBB6_1051
.LBB6_1036:                             ;   in Loop: Header=BB6_913 Depth=3
	v_ashrrev_i32_e32 v8, 31, v2
	s_mov_b32 s2, exec_lo
	s_delay_alu instid0(VALU_DEP_1) | instskip(NEXT) | instid1(VALU_DEP_1)
	v_lshrrev_b32_e32 v8, 20, v8
	v_add_nc_u32_e32 v8, v2, v8
	s_delay_alu instid0(VALU_DEP_1) | instskip(NEXT) | instid1(VALU_DEP_1)
	v_ashrrev_i32_e32 v15, 12, v8
	v_sub_nc_u32_e32 v19, v15, v148
	s_delay_alu instid0(VALU_DEP_1)
	v_cmpx_lt_i32_e32 0, v19
	s_cbranch_execz .LBB6_1041
; %bb.1037:                             ;   in Loop: Header=BB6_913 Depth=3
	s_cbranch_execnz .LBB6_1922
; %bb.1038:                             ;   in Loop: Header=BB6_913 Depth=3
	ds_load_b64 v[8:9], v0
	s_mov_b32 s4, 0
	s_waitcnt lgkmcnt(0)
	v_dual_mov_b32 v11, v9 :: v_dual_mov_b32 v10, v8
.LBB6_1039:                             ;   Parent Loop BB6_55 Depth=1
                                        ;     Parent Loop BB6_911 Depth=2
                                        ;       Parent Loop BB6_913 Depth=3
                                        ; =>      This Inner Loop Header: Depth=4
	s_delay_alu instid0(VALU_DEP_1) | instskip(NEXT) | instid1(VALU_DEP_2)
	v_add_co_u32 v25, vcc_lo, v150, v10
	v_add_co_ci_u32_e32 v26, vcc_lo, v160, v11, vcc_lo
	v_sub_nc_u32_e32 v19, v19, v147
	s_clause 0x7
	global_load_b128 v[21:24], v[25:26], off slc dlc
	global_load_b128 v[32:35], v[25:26], off offset:512 slc dlc
	global_load_b128 v[36:39], v[25:26], off offset:1024 slc dlc
	global_load_b128 v[48:51], v[25:26], off offset:1536 slc dlc
	global_load_b128 v[112:115], v[25:26], off offset:2048 slc dlc
	global_load_b128 v[128:131], v[25:26], off offset:2560 slc dlc
	global_load_b128 v[132:135], v[25:26], off offset:3072 slc dlc
	global_load_b128 v[42:45], v[25:26], off offset:3584 slc dlc
	v_add_co_u32 v25, vcc_lo, v150, v8
	v_add_co_ci_u32_e32 v26, vcc_lo, v160, v9, vcc_lo
	v_add_co_u32 v10, vcc_lo, v10, v162
	v_add_co_ci_u32_e32 v11, vcc_lo, v11, v163, vcc_lo
	;; [unrolled: 2-line block ×3, first 2 shown]
	v_cmp_gt_i32_e32 vcc_lo, 1, v19
	s_waitcnt vmcnt(7)
	global_store_b128 v[25:26], v[21:24], off glc slc dlc
	s_waitcnt vmcnt(6)
	global_store_b128 v[25:26], v[32:35], off offset:512 glc slc dlc
	s_waitcnt vmcnt(5)
	global_store_b128 v[25:26], v[36:39], off offset:1024 glc slc dlc
	;; [unrolled: 2-line block ×7, first 2 shown]
	s_or_b32 s4, vcc_lo, s4
	s_delay_alu instid0(SALU_CYCLE_1)
	s_and_not1_b32 exec_lo, exec_lo, s4
	s_cbranch_execnz .LBB6_1039
; %bb.1040:                             ;   in Loop: Header=BB6_913 Depth=3
	s_or_b32 exec_lo, exec_lo, s4
.LBB6_1041:                             ;   in Loop: Header=BB6_913 Depth=3
	s_delay_alu instid0(SALU_CYCLE_1) | instskip(SKIP_3) | instid1(VALU_DEP_1)
	s_or_b32 exec_lo, exec_lo, s2
	v_dual_mov_b32 v15, 0 :: v_dual_lshlrev_b32 v10, 12, v15
	s_mov_b32 s4, 0
	s_mov_b32 s2, exec_lo
                                        ; implicit-def: $vgpr18
                                        ; implicit-def: $vgpr22
	v_cmpx_ne_u32_e64 v2, v10
	s_cbranch_execz .LBB6_1050
; %bb.1042:                             ;   in Loop: Header=BB6_913 Depth=3
	v_lshlrev_b32_e32 v8, 5, v19
	v_sub_nc_u32_e32 v15, v2, v10
	s_mov_b32 s4, exec_lo
	s_delay_alu instid0(VALU_DEP_2) | instskip(NEXT) | instid1(VALU_DEP_2)
	v_sub_nc_u32_e32 v8, v149, v8
	v_ashrrev_i32_e32 v11, 31, v15
	s_delay_alu instid0(VALU_DEP_2) | instskip(NEXT) | instid1(VALU_DEP_2)
	v_ashrrev_i32_e32 v9, 31, v8
	v_lshrrev_b32_e32 v11, 23, v11
	s_delay_alu instid0(VALU_DEP_2) | instskip(NEXT) | instid1(VALU_DEP_2)
	v_lshrrev_b32_e32 v9, 27, v9
	v_add_nc_u32_e32 v22, v15, v11
	s_delay_alu instid0(VALU_DEP_2) | instskip(NEXT) | instid1(VALU_DEP_2)
	v_add_nc_u32_e32 v9, v8, v9
	v_and_b32_e32 v11, 0xfffffe00, v22
	v_ashrrev_i32_e32 v22, 9, v22
	s_delay_alu instid0(VALU_DEP_3) | instskip(NEXT) | instid1(VALU_DEP_3)
	v_and_b32_e32 v18, 0xffffffe0, v9
	v_sub_nc_u32_e32 v21, v15, v11
	s_delay_alu instid0(VALU_DEP_2) | instskip(SKIP_1) | instid1(VALU_DEP_3)
	v_sub_nc_u32_e32 v19, v8, v18
	v_ashrrev_i32_e32 v8, 5, v9
	v_cmp_lt_i32_e32 vcc_lo, 15, v21
	s_delay_alu instid0(VALU_DEP_3) | instskip(NEXT) | instid1(VALU_DEP_1)
	v_lshlrev_b32_e32 v9, 4, v19
	v_lshl_add_u32 v18, v8, 9, v9
	v_add_co_ci_u32_e64 v9, s13, 0, v22, vcc_lo
	s_delay_alu instid0(VALU_DEP_2) | instskip(NEXT) | instid1(VALU_DEP_2)
	v_sub_nc_u32_e32 v15, v15, v18
	v_sub_nc_u32_e32 v23, v9, v8
	s_delay_alu instid0(VALU_DEP_2)
	v_cmpx_lt_i32_e32 15, v15
	s_cbranch_execz .LBB6_1047
; %bb.1043:                             ;   in Loop: Header=BB6_913 Depth=3
	s_cbranch_execnz .LBB6_1952
; %bb.1044:                             ;   in Loop: Header=BB6_913 Depth=3
	ds_load_b64 v[8:9], v0
	v_add_nc_u32_e32 v18, v18, v10
	s_mov_b32 s11, 0
	s_delay_alu instid0(VALU_DEP_1)
	v_ashrrev_i32_e32 v22, 31, v18
.LBB6_1045:                             ;   Parent Loop BB6_55 Depth=1
                                        ;     Parent Loop BB6_911 Depth=2
                                        ;       Parent Loop BB6_913 Depth=3
                                        ; =>      This Inner Loop Header: Depth=4
	s_waitcnt lgkmcnt(0)
	v_add_co_u32 v32, s13, v8, v18
	s_delay_alu instid0(VALU_DEP_1)
	v_add_co_ci_u32_e64 v33, s13, v9, v22, s13
	v_sub_nc_u32_e32 v15, v15, v151
	v_add_co_u32 v18, s14, v18, v166
	global_load_b128 v[24:27], v[32:33], off slc dlc
	v_sub_nc_u32_e32 v23, v23, v147
	v_cmp_gt_i32_e64 s13, 16, v15
	v_add_co_ci_u32_e64 v22, s14, v22, v167, s14
	s_delay_alu instid0(VALU_DEP_2)
	s_or_b32 s11, s13, s11
	s_waitcnt vmcnt(0)
	global_store_b128 v[32:33], v[24:27], off glc slc dlc
	s_and_not1_b32 exec_lo, exec_lo, s11
	s_cbranch_execnz .LBB6_1045
; %bb.1046:                             ;   in Loop: Header=BB6_913 Depth=3
	s_or_b32 exec_lo, exec_lo, s11
.LBB6_1047:                             ;   in Loop: Header=BB6_913 Depth=3
	s_delay_alu instid0(SALU_CYCLE_1) | instskip(SKIP_3) | instid1(VALU_DEP_1)
	s_or_b32 exec_lo, exec_lo, s4
	v_dual_mov_b32 v15, 0 :: v_dual_and_b32 v8, 8, v2
	s_mov_b32 s4, 0
	s_mov_b32 s11, exec_lo
                                        ; implicit-def: $vgpr18
                                        ; implicit-def: $vgpr22
	v_cndmask_b32_e32 v2, v21, v8, vcc_lo
	s_delay_alu instid0(VALU_DEP_1)
	v_cmpx_ne_u32_e32 0, v2
; %bb.1048:                             ;   in Loop: Header=BB6_913 Depth=3
	v_cmp_lt_i32_e64 s13, 0, v23
	v_sub_nc_u32_e32 v8, v21, v8
	s_mov_b32 s4, exec_lo
	s_delay_alu instid0(VALU_DEP_2) | instskip(NEXT) | instid1(VALU_DEP_1)
	v_cndmask_b32_e64 v9, 0, v147, s13
	v_sub_nc_u32_e32 v9, v9, v23
	s_delay_alu instid0(VALU_DEP_1) | instskip(NEXT) | instid1(VALU_DEP_1)
	v_lshl_add_u32 v18, v9, 5, v19
	v_ashrrev_i32_e32 v9, 31, v18
	s_delay_alu instid0(VALU_DEP_1) | instskip(NEXT) | instid1(VALU_DEP_1)
	v_lshrrev_b32_e32 v9, 27, v9
	v_dual_cndmask_b32 v8, 0, v8 :: v_dual_add_nc_u32 v9, v18, v9
	s_delay_alu instid0(VALU_DEP_1) | instskip(NEXT) | instid1(VALU_DEP_2)
	v_add3_u32 v15, v11, v10, v8
	v_ashrrev_i32_e32 v22, 5, v9
; %bb.1049:                             ;   in Loop: Header=BB6_913 Depth=3
	s_or_b32 exec_lo, exec_lo, s11
	s_delay_alu instid0(SALU_CYCLE_1)
	s_and_b32 s4, s4, exec_lo
.LBB6_1050:                             ;   in Loop: Header=BB6_913 Depth=3
	s_or_b32 exec_lo, exec_lo, s2
.LBB6_1051:                             ;   in Loop: Header=BB6_913 Depth=3
	s_and_saveexec_b32 s2, s4
	s_cbranch_execz .LBB6_1063
; %bb.1052:                             ;   in Loop: Header=BB6_913 Depth=3
	v_ashrrev_i32_e32 v8, 31, v2
	s_mov_b32 s4, exec_lo
	s_delay_alu instid0(VALU_DEP_1) | instskip(NEXT) | instid1(VALU_DEP_1)
	v_lshrrev_b32_e32 v8, 22, v8
	v_add_nc_u32_e32 v8, v2, v8
	s_delay_alu instid0(VALU_DEP_1) | instskip(NEXT) | instid1(VALU_DEP_1)
	v_ashrrev_i32_e32 v21, 10, v8
	v_sub_nc_u32_e32 v19, v21, v22
	s_delay_alu instid0(VALU_DEP_1)
	v_cmpx_lt_i32_e32 0, v19
	s_cbranch_execz .LBB6_1057
; %bb.1053:                             ;   in Loop: Header=BB6_913 Depth=3
	s_cbranch_execnz .LBB6_1912
; %bb.1054:                             ;   in Loop: Header=BB6_913 Depth=3
	v_ashrrev_i32_e32 v8, 31, v18
	s_mov_b32 s11, 0
	s_delay_alu instid0(VALU_DEP_1) | instskip(NEXT) | instid1(VALU_DEP_1)
	v_lshrrev_b32_e32 v8, 27, v8
	v_add_nc_u32_e32 v8, v18, v8
	s_delay_alu instid0(VALU_DEP_1) | instskip(SKIP_3) | instid1(VALU_DEP_1)
	v_and_b32_e32 v10, 0x1fffffe0, v8
	ds_load_b64 v[8:9], v0
	v_lshlrev_b32_e32 v11, 10, v22
	v_sub_nc_u32_e32 v10, v18, v10
	v_lshlrev_b32_e32 v10, 3, v10
	s_delay_alu instid0(VALU_DEP_1) | instskip(NEXT) | instid1(VALU_DEP_1)
	v_add3_u32 v22, v10, v15, v11
	v_ashrrev_i32_e32 v23, 31, v22
	s_waitcnt lgkmcnt(0)
	v_dual_mov_b32 v11, v9 :: v_dual_mov_b32 v10, v8
	s_set_inst_prefetch_distance 0x1
.LBB6_1055:                             ;   Parent Loop BB6_55 Depth=1
                                        ;     Parent Loop BB6_911 Depth=2
                                        ;       Parent Loop BB6_913 Depth=3
                                        ; =>      This Inner Loop Header: Depth=4
	s_delay_alu instid0(VALU_DEP_1) | instskip(NEXT) | instid1(VALU_DEP_2)
	v_add_co_u32 v24, vcc_lo, v22, v10
	v_add_co_ci_u32_e32 v25, vcc_lo, v23, v11, vcc_lo
	v_add_co_u32 v36, vcc_lo, v22, v8
	v_sub_nc_u32_e32 v19, v19, v147
	s_clause 0x3
	flat_load_b64 v[26:27], v[24:25] slc dlc
	flat_load_b64 v[32:33], v[24:25] offset:256 slc dlc
	flat_load_b64 v[34:35], v[24:25] offset:512 slc dlc
	;; [unrolled: 1-line block ×3, first 2 shown]
	v_add_co_ci_u32_e32 v37, vcc_lo, v23, v9, vcc_lo
	v_add_co_u32 v10, vcc_lo, v10, v177
	v_add_co_ci_u32_e32 v11, vcc_lo, v11, v178, vcc_lo
	v_add_co_u32 v8, vcc_lo, v8, v177
	v_cmp_gt_i32_e64 s13, 1, v19
	v_add_co_ci_u32_e32 v9, vcc_lo, v9, v178, vcc_lo
	s_waitcnt vmcnt(3) lgkmcnt(3)
	flat_store_b64 v[36:37], v[26:27] glc slc dlc
	s_waitcnt vmcnt(2) lgkmcnt(3)
	flat_store_b64 v[36:37], v[32:33] offset:256 glc slc dlc
	s_waitcnt vmcnt(1) lgkmcnt(3)
	flat_store_b64 v[36:37], v[34:35] offset:512 glc slc dlc
	;; [unrolled: 2-line block ×3, first 2 shown]
	s_or_b32 s11, s13, s11
	s_delay_alu instid0(SALU_CYCLE_1)
	s_and_not1_b32 exec_lo, exec_lo, s11
	s_cbranch_execnz .LBB6_1055
; %bb.1056:                             ;   in Loop: Header=BB6_913 Depth=3
	s_set_inst_prefetch_distance 0x2
	s_or_b32 exec_lo, exec_lo, s11
.LBB6_1057:                             ;   in Loop: Header=BB6_913 Depth=3
	s_delay_alu instid0(SALU_CYCLE_1) | instskip(SKIP_2) | instid1(VALU_DEP_1)
	s_or_b32 exec_lo, exec_lo, s4
	v_lshlrev_b32_e32 v8, 10, v21
	s_mov_b32 s4, exec_lo
	v_cmpx_ne_u32_e64 v2, v8
	s_cbranch_execz .LBB6_1062
; %bb.1058:                             ;   in Loop: Header=BB6_913 Depth=3
	v_ashrrev_i32_e32 v9, 31, v18
	v_lshlrev_b32_e32 v10, 5, v19
	s_delay_alu instid0(VALU_DEP_2) | instskip(NEXT) | instid1(VALU_DEP_1)
	v_lshrrev_b32_e32 v9, 27, v9
	v_add_nc_u32_e32 v9, v18, v9
	s_delay_alu instid0(VALU_DEP_1) | instskip(NEXT) | instid1(VALU_DEP_1)
	v_and_b32_e32 v9, 0xffffffe0, v9
	v_sub_nc_u32_e32 v9, v18, v9
	s_delay_alu instid0(VALU_DEP_1) | instskip(NEXT) | instid1(VALU_DEP_1)
	v_sub_nc_u32_e32 v9, v9, v10
	v_ashrrev_i32_e32 v10, 31, v9
	s_delay_alu instid0(VALU_DEP_1) | instskip(NEXT) | instid1(VALU_DEP_1)
	v_lshrrev_b32_e32 v10, 27, v10
	v_add_nc_u32_e32 v10, v9, v10
	s_delay_alu instid0(VALU_DEP_1) | instskip(SKIP_1) | instid1(VALU_DEP_2)
	v_and_b32_e32 v11, 0x1fffffe0, v10
	v_lshlrev_b32_e32 v10, 3, v10
	v_sub_nc_u32_e32 v9, v9, v11
	s_delay_alu instid0(VALU_DEP_2) | instskip(NEXT) | instid1(VALU_DEP_2)
	v_and_b32_e32 v10, 0xffffff00, v10
	v_lshlrev_b32_e32 v9, 3, v9
	s_delay_alu instid0(VALU_DEP_1) | instskip(NEXT) | instid1(VALU_DEP_1)
	v_add3_u32 v10, v10, v9, v8
	v_sub_nc_u32_e32 v2, v2, v10
	s_delay_alu instid0(VALU_DEP_1)
	v_cmp_lt_i32_e32 vcc_lo, 7, v2
	s_and_b32 exec_lo, exec_lo, vcc_lo
	s_cbranch_execz .LBB6_1062
; %bb.1059:                             ;   in Loop: Header=BB6_913 Depth=3
	s_cbranch_execnz .LBB6_1948
; %bb.1060:                             ;   in Loop: Header=BB6_913 Depth=3
	ds_load_b64 v[8:9], v0
	v_add_nc_u32_e32 v10, v10, v15
	s_mov_b32 s11, 0
	s_delay_alu instid0(VALU_DEP_1)
	v_ashrrev_i32_e32 v11, 31, v10
.LBB6_1061:                             ;   Parent Loop BB6_55 Depth=1
                                        ;     Parent Loop BB6_911 Depth=2
                                        ;       Parent Loop BB6_913 Depth=3
                                        ; =>      This Inner Loop Header: Depth=4
	s_waitcnt lgkmcnt(0)
	v_add_co_u32 v18, vcc_lo, v8, v10
	s_delay_alu instid0(VALU_DEP_2)
	v_add_co_ci_u32_e32 v19, vcc_lo, v9, v11, vcc_lo
	v_sub_nc_u32_e32 v2, v2, v165
	v_add_co_u32 v10, s13, v10, v180
	flat_load_b64 v[21:22], v[18:19] slc dlc
	v_add_co_ci_u32_e64 v11, s13, v11, v181, s13
	v_cmp_gt_i32_e32 vcc_lo, 8, v2
	s_or_b32 s11, vcc_lo, s11
	s_waitcnt vmcnt(0) lgkmcnt(0)
	flat_store_b64 v[18:19], v[21:22] glc slc dlc
	s_and_not1_b32 exec_lo, exec_lo, s11
	s_cbranch_execnz .LBB6_1061
.LBB6_1062:                             ;   in Loop: Header=BB6_913 Depth=3
	s_or_b32 exec_lo, exec_lo, s4
.LBB6_1063:                             ;   in Loop: Header=BB6_913 Depth=3
	s_delay_alu instid0(SALU_CYCLE_1)
	s_or_b32 exec_lo, exec_lo, s2
.LBB6_1064:                             ;   in Loop: Header=BB6_913 Depth=3
	s_and_saveexec_b32 s2, s3
	s_cbranch_execz .LBB6_1086
; %bb.1065:                             ;   in Loop: Header=BB6_913 Depth=3
	s_and_saveexec_b32 s4, s41
	s_delay_alu instid0(SALU_CYCLE_1)
	s_xor_b32 s4, exec_lo, s4
	s_cbranch_execz .LBB6_1083
; %bb.1066:                             ;   in Loop: Header=BB6_913 Depth=3
	s_and_saveexec_b32 s11, s1
	s_cbranch_execz .LBB6_1082
; %bb.1067:                             ;   in Loop: Header=BB6_913 Depth=3
	s_mov_b32 s14, exec_lo
	s_mov_b32 s13, exec_lo
	v_mbcnt_lo_u32_b32 v2, s14, 0
	s_waitcnt lgkmcnt(0)
	s_waitcnt_vscnt null, 0x0
	buffer_gl1_inv
	buffer_gl0_inv
	v_cmpx_eq_u32_e32 0, v2
	s_cbranch_execz .LBB6_1069
; %bb.1068:                             ;   in Loop: Header=BB6_913 Depth=3
	s_bcnt1_i32_b32 s14, s14
	s_delay_alu instid0(SALU_CYCLE_1)
	v_mov_b32_e32 v2, s14
	ds_add_u64 v0, v[2:3]
	s_cbranch_execnz .LBB6_1896
.LBB6_1069:                             ;   in Loop: Header=BB6_913 Depth=3
	s_or_b32 exec_lo, exec_lo, s13
	s_cbranch_execnz .LBB6_1874
; %bb.1070:                             ;   in Loop: Header=BB6_913 Depth=3
	ds_load_b64 v[8:9], v0
	v_add_co_u32 v80, vcc_lo, v80, v147
	v_add_co_ci_u32_e32 v81, vcc_lo, 0, v81, vcc_lo
	s_mov_b32 s13, exec_lo
	s_waitcnt lgkmcnt(0)
	s_delay_alu instid0(VALU_DEP_1)
	v_cmpx_lt_u64_e64 v[8:9], v[80:81]
	s_cbranch_execz .LBB6_1081
; %bb.1071:                             ;   in Loop: Header=BB6_913 Depth=3
	s_mov_b32 s14, 0
	s_mov_b32 s38, 0
                                        ; implicit-def: $sgpr15
                                        ; implicit-def: $sgpr37
	s_branch .LBB6_1073
.LBB6_1072:                             ;   in Loop: Header=BB6_1073 Depth=4
	s_or_b32 exec_lo, exec_lo, s40
	s_delay_alu instid0(SALU_CYCLE_1) | instskip(NEXT) | instid1(SALU_CYCLE_1)
	s_and_b32 vcc_lo, exec_lo, vcc_lo
	s_or_b32 s14, vcc_lo, s14
	s_and_not1_b32 s15, s15, exec_lo
	s_and_b32 vcc_lo, s37, exec_lo
	s_delay_alu instid0(SALU_CYCLE_1)
	s_or_b32 s15, s15, vcc_lo
	s_and_not1_b32 exec_lo, exec_lo, s14
	s_cbranch_execz .LBB6_1079
.LBB6_1073:                             ;   Parent Loop BB6_55 Depth=1
                                        ;     Parent Loop BB6_911 Depth=2
                                        ;       Parent Loop BB6_913 Depth=3
                                        ; =>      This Inner Loop Header: Depth=4
	s_add_i32 s38, s38, 1
                                        ; implicit-def: $sgpr40
	s_delay_alu instid0(SALU_CYCLE_1) | instskip(SKIP_1) | instid1(SALU_CYCLE_1)
	s_cmpk_lg_i32 s38, 0x2710
	s_cselect_b32 s39, -1, 0
	s_and_b32 vcc_lo, exec_lo, s39
	s_cbranch_vccz .LBB6_1077
.LBB6_1074:                             ;   in Loop: Header=BB6_1073 Depth=4
	s_and_not1_b32 s37, s37, exec_lo
	s_and_b32 s40, s40, exec_lo
	s_mov_b32 vcc_lo, -1
	s_or_b32 s37, s37, s40
	s_and_saveexec_b32 s40, s39
	s_cbranch_execz .LBB6_1072
; %bb.1075:                             ;   in Loop: Header=BB6_1073 Depth=4
	s_sleep 1
	s_cbranch_execnz .LBB6_1928
; %bb.1076:                             ;   in Loop: Header=BB6_1073 Depth=4
	ds_load_b64 v[8:9], v0
	s_and_not1_b32 s37, s37, exec_lo
	s_waitcnt lgkmcnt(0)
	v_cmp_ge_u64_e32 vcc_lo, v[8:9], v[80:81]
	s_or_not1_b32 vcc_lo, vcc_lo, exec_lo
	s_branch .LBB6_1072
.LBB6_1077:                             ;   in Loop: Header=BB6_1073 Depth=4
	s_cbranch_execnz .LBB6_1936
; %bb.1078:                             ;   in Loop: Header=BB6_1073 Depth=4
	ds_load_b64 v[8:9], v0
	s_and_not1_b32 s39, s39, exec_lo
	s_mov_b32 s38, 0
	s_mov_b32 s40, -1
	s_waitcnt lgkmcnt(0)
	flat_load_b32 v2, v[8:9] glc
	s_waitcnt vmcnt(0) lgkmcnt(0)
	buffer_gl1_inv
	buffer_gl0_inv
	v_cmp_eq_u32_e32 vcc_lo, 0, v2
	s_and_b32 vcc_lo, vcc_lo, exec_lo
	s_delay_alu instid0(SALU_CYCLE_1)
	s_or_b32 s39, s39, vcc_lo
	s_branch .LBB6_1074
.LBB6_1079:                             ;   in Loop: Header=BB6_913 Depth=3
	s_or_b32 exec_lo, exec_lo, s14
	s_and_saveexec_b32 s14, s15
	s_delay_alu instid0(SALU_CYCLE_1)
	s_xor_b32 s14, exec_lo, s14
	s_cbranch_execz .LBB6_1081
; %bb.1080:                             ;   in Loop: Header=BB6_913 Depth=3
	ds_store_b32 v0, v41
	s_cbranch_execnz .LBB6_1982
.LBB6_1081:                             ;   in Loop: Header=BB6_913 Depth=3
	s_or_b32 exec_lo, exec_lo, s13
	;;#ASMSTART
	s_wakeup
	;;#ASMEND
.LBB6_1082:                             ;   in Loop: Header=BB6_913 Depth=3
	s_or_b32 exec_lo, exec_lo, s11
.LBB6_1083:                             ;   in Loop: Header=BB6_913 Depth=3
	s_and_not1_saveexec_b32 s4, s4
	s_cbranch_execz .LBB6_1085
; %bb.1084:                             ;   in Loop: Header=BB6_913 Depth=3
	s_waitcnt lgkmcnt(0)
	s_waitcnt_vscnt null, 0x0
	buffer_gl1_inv
	buffer_gl0_inv
	s_barrier
.LBB6_1085:                             ;   in Loop: Header=BB6_913 Depth=3
	s_or_b32 exec_lo, exec_lo, s4
.LBB6_1086:                             ;   in Loop: Header=BB6_913 Depth=3
	s_delay_alu instid0(SALU_CYCLE_1) | instskip(SKIP_1) | instid1(SALU_CYCLE_1)
	s_or_b32 exec_lo, exec_lo, s2
                                        ; implicit-def: $vgpr2
	s_and_saveexec_b32 s2, s7
	s_xor_b32 s2, exec_lo, s2
	s_cbranch_execz .LBB6_1090
; %bb.1087:                             ;   in Loop: Header=BB6_913 Depth=3
	v_and_b32_e32 v2, 16, v30
	v_cmp_lt_i32_e32 vcc_lo, 0, v13
	s_delay_alu instid0(VALU_DEP_2) | instskip(SKIP_1) | instid1(VALU_DEP_2)
	v_cmp_ne_u32_e64 s13, 0, v2
	v_and_b32_e32 v2, 16, v30
	s_and_b32 s11, s13, vcc_lo
	s_delay_alu instid0(SALU_CYCLE_1)
	s_and_saveexec_b32 s4, s11
	s_cbranch_execz .LBB6_1089
; %bb.1088:                             ;   in Loop: Header=BB6_913 Depth=3
	v_mov_b32_e32 v2, 1
	s_waitcnt lgkmcnt(0)
	s_waitcnt_vscnt null, 0x0
	buffer_gl1_inv
	buffer_gl0_inv
.LBB6_1089:                             ;   in Loop: Header=BB6_913 Depth=3
	s_or_b32 exec_lo, exec_lo, s4
.LBB6_1090:                             ;   in Loop: Header=BB6_913 Depth=3
	s_and_not1_saveexec_b32 s2, s2
	s_cbranch_execz .LBB6_1112
; %bb.1091:                             ;   in Loop: Header=BB6_913 Depth=3
	s_and_saveexec_b32 s4, s41
	s_delay_alu instid0(SALU_CYCLE_1)
	s_xor_b32 s4, exec_lo, s4
	s_cbranch_execz .LBB6_1109
; %bb.1092:                             ;   in Loop: Header=BB6_913 Depth=3
	s_and_saveexec_b32 s11, s1
	s_cbranch_execz .LBB6_1108
; %bb.1093:                             ;   in Loop: Header=BB6_913 Depth=3
	s_mov_b32 s14, exec_lo
	s_mov_b32 s13, exec_lo
	v_mbcnt_lo_u32_b32 v2, s14, 0
	;;#ASMSTART
	s_waitcnt lgkmcnt(0) vmcnt(0)
	;;#ASMEND
	s_delay_alu instid0(VALU_DEP_1)
	v_cmpx_eq_u32_e32 0, v2
	s_cbranch_execz .LBB6_1095
; %bb.1094:                             ;   in Loop: Header=BB6_913 Depth=3
	s_bcnt1_i32_b32 s14, s14
	s_delay_alu instid0(SALU_CYCLE_1)
	v_mov_b32_e32 v2, s14
	ds_add_u64 v0, v[2:3]
	s_cbranch_execnz .LBB6_1898
.LBB6_1095:                             ;   in Loop: Header=BB6_913 Depth=3
	s_or_b32 exec_lo, exec_lo, s13
	s_cbranch_execnz .LBB6_1878
; %bb.1096:                             ;   in Loop: Header=BB6_913 Depth=3
	ds_load_b64 v[8:9], v0
	v_add_co_u32 v80, vcc_lo, v80, v147
	v_add_co_ci_u32_e32 v81, vcc_lo, 0, v81, vcc_lo
	s_mov_b32 s13, exec_lo
	s_waitcnt lgkmcnt(0)
	s_delay_alu instid0(VALU_DEP_1)
	v_cmpx_lt_u64_e64 v[8:9], v[80:81]
	s_cbranch_execz .LBB6_1107
; %bb.1097:                             ;   in Loop: Header=BB6_913 Depth=3
	s_mov_b32 s14, 0
	s_mov_b32 s38, 0
                                        ; implicit-def: $sgpr15
                                        ; implicit-def: $sgpr37
	s_branch .LBB6_1099
.LBB6_1098:                             ;   in Loop: Header=BB6_1099 Depth=4
	s_or_b32 exec_lo, exec_lo, s40
	s_delay_alu instid0(SALU_CYCLE_1) | instskip(NEXT) | instid1(SALU_CYCLE_1)
	s_and_b32 vcc_lo, exec_lo, vcc_lo
	s_or_b32 s14, vcc_lo, s14
	s_and_not1_b32 s15, s15, exec_lo
	s_and_b32 vcc_lo, s37, exec_lo
	s_delay_alu instid0(SALU_CYCLE_1)
	s_or_b32 s15, s15, vcc_lo
	s_and_not1_b32 exec_lo, exec_lo, s14
	s_cbranch_execz .LBB6_1105
.LBB6_1099:                             ;   Parent Loop BB6_55 Depth=1
                                        ;     Parent Loop BB6_911 Depth=2
                                        ;       Parent Loop BB6_913 Depth=3
                                        ; =>      This Inner Loop Header: Depth=4
	s_add_i32 s38, s38, 1
                                        ; implicit-def: $sgpr40
	s_delay_alu instid0(SALU_CYCLE_1) | instskip(SKIP_1) | instid1(SALU_CYCLE_1)
	s_cmpk_lg_i32 s38, 0x2710
	s_cselect_b32 s39, -1, 0
	s_and_b32 vcc_lo, exec_lo, s39
	s_cbranch_vccnz .LBB6_1102
; %bb.1100:                             ;   in Loop: Header=BB6_1099 Depth=4
	s_cbranch_execnz .LBB6_1940
; %bb.1101:                             ;   in Loop: Header=BB6_1099 Depth=4
	ds_load_b64 v[8:9], v0
	s_and_not1_b32 s39, s39, exec_lo
	s_mov_b32 s38, 0
	s_mov_b32 s40, -1
	s_waitcnt lgkmcnt(0)
	s_waitcnt_vscnt null, 0x0
	flat_load_b32 v2, v[8:9] glc
	s_waitcnt vmcnt(0) lgkmcnt(0)
	buffer_gl1_inv
	buffer_gl0_inv
	v_cmp_eq_u32_e32 vcc_lo, 0, v2
	s_and_b32 vcc_lo, vcc_lo, exec_lo
	s_delay_alu instid0(SALU_CYCLE_1)
	s_or_b32 s39, s39, vcc_lo
.LBB6_1102:                             ;   in Loop: Header=BB6_1099 Depth=4
	s_and_not1_b32 s37, s37, exec_lo
	s_and_b32 s40, s40, exec_lo
	s_mov_b32 vcc_lo, -1
	s_or_b32 s37, s37, s40
	s_and_saveexec_b32 s40, s39
	s_cbranch_execz .LBB6_1098
; %bb.1103:                             ;   in Loop: Header=BB6_1099 Depth=4
	s_sleep 1
	s_cbranch_execnz .LBB6_1934
; %bb.1104:                             ;   in Loop: Header=BB6_1099 Depth=4
	ds_load_b64 v[8:9], v0
	s_and_not1_b32 s37, s37, exec_lo
	s_waitcnt lgkmcnt(0)
	v_cmp_ge_u64_e32 vcc_lo, v[8:9], v[80:81]
	s_or_not1_b32 vcc_lo, vcc_lo, exec_lo
	s_branch .LBB6_1098
.LBB6_1105:                             ;   in Loop: Header=BB6_913 Depth=3
	s_or_b32 exec_lo, exec_lo, s14
	s_and_saveexec_b32 s14, s15
	s_delay_alu instid0(SALU_CYCLE_1)
	s_xor_b32 s14, exec_lo, s14
	s_cbranch_execz .LBB6_1107
; %bb.1106:                             ;   in Loop: Header=BB6_913 Depth=3
	ds_store_b32 v0, v41
	s_cbranch_execnz .LBB6_1984
.LBB6_1107:                             ;   in Loop: Header=BB6_913 Depth=3
	s_or_b32 exec_lo, exec_lo, s13
	;;#ASMSTART
	s_wakeup
	;;#ASMEND
.LBB6_1108:                             ;   in Loop: Header=BB6_913 Depth=3
	s_or_b32 exec_lo, exec_lo, s11
.LBB6_1109:                             ;   in Loop: Header=BB6_913 Depth=3
	s_and_not1_saveexec_b32 s4, s4
	s_cbranch_execz .LBB6_1111
; %bb.1110:                             ;   in Loop: Header=BB6_913 Depth=3
	;;#ASMSTART
	s_waitcnt lgkmcnt(0) vmcnt(0)
	;;#ASMEND
	s_waitcnt lgkmcnt(0)
	s_waitcnt_vscnt null, 0x0
	s_barrier
.LBB6_1111:                             ;   in Loop: Header=BB6_913 Depth=3
	s_or_b32 exec_lo, exec_lo, s4
	v_and_b32_e32 v2, 16, v30
.LBB6_1112:                             ;   in Loop: Header=BB6_913 Depth=3
	s_or_b32 exec_lo, exec_lo, s2
	s_delay_alu instid0(VALU_DEP_1) | instskip(SKIP_1) | instid1(SALU_CYCLE_1)
	v_cmp_ne_u32_e32 vcc_lo, 0, v2
	s_xor_b32 s2, s10, -1
	s_and_b32 s4, vcc_lo, s2
	s_delay_alu instid0(SALU_CYCLE_1)
	s_and_saveexec_b32 s2, s4
	s_cbranch_execz .LBB6_1114
; %bb.1113:                             ;   in Loop: Header=BB6_913 Depth=3
	s_waitcnt lgkmcnt(0)
	s_waitcnt_vscnt null, 0x0
	flat_store_b32 v[70:71], v41
.LBB6_1114:                             ;   in Loop: Header=BB6_913 Depth=3
	s_or_b32 exec_lo, exec_lo, s2
	v_and_b32_e32 v2, 48, v30
	s_mov_b32 s2, exec_lo
	s_delay_alu instid0(VALU_DEP_1)
	v_cmpx_ne_u32_e32 0, v2
	s_cbranch_execz .LBB6_1116
; %bb.1115:                             ;   in Loop: Header=BB6_913 Depth=3
	v_add_co_u32 v66, vcc_lo, v66, 2
	v_add_co_ci_u32_e32 v67, vcc_lo, 0, v67, vcc_lo
	s_waitcnt lgkmcnt(0)
	s_waitcnt_vscnt null, 0x0
	flat_store_b64 v[64:65], v[66:67]
.LBB6_1116:                             ;   in Loop: Header=BB6_913 Depth=3
	s_or_b32 exec_lo, exec_lo, s2
	v_add_nc_u32_e32 v14, v12, v14
	s_xor_b32 s2, s35, -1
	v_mov_b32_e32 v2, s36
	s_mov_b32 s35, 0
	s_mov_b32 s36, 2
	v_cmp_ge_i32_e32 vcc_lo, v14, v20
	s_or_b32 s2, s2, vcc_lo
	s_delay_alu instid0(SALU_CYCLE_1) | instskip(NEXT) | instid1(SALU_CYCLE_1)
	s_and_b32 s2, exec_lo, s2
	s_or_b32 s34, s2, s34
	s_delay_alu instid0(SALU_CYCLE_1)
	s_and_not1_b32 exec_lo, exec_lo, s34
	s_cbranch_execnz .LBB6_913
; %bb.1117:                             ;   in Loop: Header=BB6_911 Depth=2
	s_or_b32 exec_lo, exec_lo, s34
.LBB6_1118:                             ;   in Loop: Header=BB6_911 Depth=2
	s_delay_alu instid0(SALU_CYCLE_1) | instskip(NEXT) | instid1(SALU_CYCLE_1)
	s_or_b32 exec_lo, exec_lo, s31
	s_mov_b32 s11, exec_lo
	v_cmpx_gt_i32_e32 2, v2
	s_cbranch_execz .LBB6_1202
; %bb.1119:                             ;   in Loop: Header=BB6_911 Depth=2
	v_cmp_eq_u32_e64 s2, 0, v2
	s_mov_b32 s14, 0
.LBB6_1120:                             ;   Parent Loop BB6_55 Depth=1
                                        ;     Parent Loop BB6_911 Depth=2
                                        ; =>    This Loop Header: Depth=3
                                        ;         Child Loop BB6_1126 Depth 4
                                        ;         Child Loop BB6_1156 Depth 4
	;; [unrolled: 1-line block ×3, first 2 shown]
	v_and_b32_e32 v2, 12, v30
	s_mov_b32 s13, -1
	s_mov_b32 s4, exec_lo
	s_delay_alu instid0(VALU_DEP_1)
	v_cmpx_ne_u32_e32 0, v2
	s_cbranch_execz .LBB6_1134
; %bb.1121:                             ;   in Loop: Header=BB6_1120 Depth=3
	v_and_b32_e32 v2, 8, v30
	s_delay_alu instid0(VALU_DEP_1) | instskip(SKIP_3) | instid1(VALU_DEP_1)
	v_add_co_u32 v10, vcc_lo, v82, v2
	v_add_co_ci_u32_e32 v11, vcc_lo, 0, v83, vcc_lo
	v_add_co_u32 v8, vcc_lo, v66, 2
	v_add_co_ci_u32_e32 v9, vcc_lo, 0, v67, vcc_lo
	v_cmp_lt_u64_e32 vcc_lo, v[10:11], v[8:9]
	v_mov_b32_e32 v10, 1
	s_and_saveexec_b32 s13, vcc_lo
	s_cbranch_execz .LBB6_1133
; %bb.1122:                             ;   in Loop: Header=BB6_1120 Depth=3
	v_mov_b32_e32 v10, 0
	s_mov_b32 s15, 0
                                        ; implicit-def: $sgpr31
	s_branch .LBB6_1126
.LBB6_1123:                             ;   in Loop: Header=BB6_1126 Depth=4
	s_or_b32 exec_lo, exec_lo, s37
	v_mov_b32_e32 v11, 0
	s_or_not1_b32 s36, s36, exec_lo
.LBB6_1124:                             ;   in Loop: Header=BB6_1126 Depth=4
	s_or_b32 exec_lo, exec_lo, s35
	s_delay_alu instid0(VALU_DEP_1) | instskip(SKIP_2) | instid1(SALU_CYCLE_1)
	v_mov_b32_e32 v10, v11
	s_and_not1_b32 vcc_lo, s31, exec_lo
	s_and_b32 s31, s36, exec_lo
	s_or_b32 s31, vcc_lo, s31
.LBB6_1125:                             ;   in Loop: Header=BB6_1126 Depth=4
	s_or_b32 exec_lo, exec_lo, s34
	s_waitcnt vmcnt(0) lgkmcnt(0)
	v_add_co_u32 v15, vcc_lo, v82, v2
	v_add_co_ci_u32_e32 v16, vcc_lo, 0, v83, vcc_lo
	s_xor_b32 s34, s31, -1
	s_delay_alu instid0(VALU_DEP_1) | instskip(SKIP_1) | instid1(SALU_CYCLE_1)
	v_cmp_ge_u64_e32 vcc_lo, v[15:16], v[8:9]
	s_or_b32 vcc_lo, s34, vcc_lo
	s_and_b32 vcc_lo, exec_lo, vcc_lo
	s_delay_alu instid0(SALU_CYCLE_1) | instskip(NEXT) | instid1(SALU_CYCLE_1)
	s_or_b32 s15, vcc_lo, s15
	s_and_not1_b32 exec_lo, exec_lo, s15
	s_cbranch_execz .LBB6_1132
.LBB6_1126:                             ;   Parent Loop BB6_55 Depth=1
                                        ;     Parent Loop BB6_911 Depth=2
                                        ;       Parent Loop BB6_1120 Depth=3
                                        ; =>      This Inner Loop Header: Depth=4
	s_sleep 1
	flat_load_b64 v[82:83], v[64:65] glc
	v_and_b32_e32 v11, 64, v30
	s_and_not1_b32 s31, s31, exec_lo
	s_mov_b32 s34, exec_lo
	s_delay_alu instid0(VALU_DEP_1)
	v_cmpx_eq_u32_e32 0, v11
	s_cbranch_execz .LBB6_1125
; %bb.1127:                             ;   in Loop: Header=BB6_1126 Depth=4
	v_add_nc_u32_e32 v11, 1, v10
	s_mov_b32 s36, -1
	s_mov_b32 s35, exec_lo
	v_cmpx_lt_i32_e32 0x270e, v10
	s_cbranch_execz .LBB6_1124
; %bb.1128:                             ;   in Loop: Header=BB6_1126 Depth=4
	s_cbranch_execnz .LBB6_1642
; %bb.1129:                             ;   in Loop: Header=BB6_1126 Depth=4
	ds_load_b64 v[10:11], v0
	s_mov_b32 s37, exec_lo
	s_waitcnt vmcnt(0) lgkmcnt(0)
	s_waitcnt_vscnt null, 0x0
	flat_load_b32 v10, v[10:11] glc
	s_waitcnt vmcnt(0) lgkmcnt(0)
	buffer_gl1_inv
	buffer_gl0_inv
	v_cmpx_ne_u32_e32 0, v10
	s_cbranch_execz .LBB6_1123
; %bb.1130:                             ;   in Loop: Header=BB6_1126 Depth=4
	ds_store_b32 v0, v10
	s_cbranch_execnz .LBB6_1726
; %bb.1131:                             ;   in Loop: Header=BB6_1126 Depth=4
	v_or_b32_e32 v30, 64, v30
	s_xor_b32 s36, exec_lo, -1
	s_branch .LBB6_1123
.LBB6_1132:                             ;   in Loop: Header=BB6_1120 Depth=3
	s_or_b32 exec_lo, exec_lo, s15
	v_and_b32_e32 v10, 12, v30
.LBB6_1133:                             ;   in Loop: Header=BB6_1120 Depth=3
	s_or_b32 exec_lo, exec_lo, s13
	s_delay_alu instid0(VALU_DEP_1)
	v_cmp_eq_u32_e32 vcc_lo, 0, v10
	;;#ASMSTART
	s_wakeup
	;;#ASMEND
	s_or_not1_b32 s13, vcc_lo, exec_lo
.LBB6_1134:                             ;   in Loop: Header=BB6_1120 Depth=3
	s_or_b32 exec_lo, exec_lo, s4
	v_sub_nc_u32_e32 v2, v20, v14
	s_xor_b32 s2, s2, -1
	s_delay_alu instid0(SALU_CYCLE_1) | instskip(NEXT) | instid1(SALU_CYCLE_1)
	s_and_b32 s2, exec_lo, s2
	s_or_b32 s14, s2, s14
	s_delay_alu instid0(VALU_DEP_1) | instskip(SKIP_1) | instid1(SALU_CYCLE_1)
	v_min_i32_e32 v12, v12, v2
	s_xor_b32 s4, s13, -1
	s_and_saveexec_b32 s2, s4
	s_cbranch_execz .LBB6_1147
; %bb.1135:                             ;   in Loop: Header=BB6_1120 Depth=3
	v_and_b32_e32 v2, 0x108, v30
	s_delay_alu instid0(VALU_DEP_1) | instskip(SKIP_2) | instid1(SALU_CYCLE_1)
	v_cmp_ne_u32_e32 vcc_lo, 0x108, v2
	v_and_b32_e32 v2, 7, v66
	s_and_saveexec_b32 s4, vcc_lo
	s_xor_b32 s4, exec_lo, s4
	s_delay_alu instid0(SALU_CYCLE_1)
	s_and_not1_saveexec_b32 s4, s4
	s_cbranch_execz .LBB6_1137
; %bb.1136:                             ;   in Loop: Header=BB6_1120 Depth=3
	v_ashrrev_i32_e32 v13, 31, v12
	v_mad_u64_u32 v[8:9], null, v2, 24, v[6:7]
	s_delay_alu instid0(VALU_DEP_2)
	v_lshlrev_b64 v[10:11], 3, v[12:13]
	flat_store_b64 v[8:9], v[10:11] offset:8
.LBB6_1137:                             ;   in Loop: Header=BB6_1120 Depth=3
	s_or_b32 exec_lo, exec_lo, s4
	v_and_b32_e32 v8, 0x100, v30
	s_mov_b32 s13, -1
	s_delay_alu instid0(VALU_DEP_1)
	v_cmp_ne_u32_e32 vcc_lo, 0, v8
                                        ; implicit-def: $vgpr8_vgpr9
	s_and_saveexec_b32 s4, vcc_lo
	s_cbranch_execz .LBB6_1142
; %bb.1138:                             ;   in Loop: Header=BB6_1120 Depth=3
	v_mad_u64_u32 v[10:11], null, v2, 24, v[6:7]
	s_delay_alu instid0(VALU_DEP_1) | instskip(NEXT) | instid1(VALU_DEP_1)
	v_mov_b32_e32 v8, v11
	v_mad_u64_u32 v[15:16], null, v3, 24, v[8:9]
	s_delay_alu instid0(VALU_DEP_1) | instskip(SKIP_4) | instid1(VALU_DEP_1)
	v_mov_b32_e32 v11, v15
	flat_load_b32 v8, v[10:11]
	s_waitcnt vmcnt(0) lgkmcnt(0)
	v_cmp_ne_u32_e32 vcc_lo, 1, v8
	v_cmp_eq_u32_e64 s13, 1, v8
                                        ; implicit-def: $vgpr8_vgpr9
	s_and_saveexec_b32 s15, s13
	s_cbranch_execz .LBB6_1140
; %bb.1139:                             ;   in Loop: Header=BB6_1120 Depth=3
	flat_load_b32 v8, v[10:11] offset:4 glc
	s_waitcnt vmcnt(0) lgkmcnt(0)
	v_ashrrev_i32_e32 v9, 31, v8
	s_delay_alu instid0(VALU_DEP_1)
	v_lshrrev_b64 v[8:9], 3, v[8:9]
.LBB6_1140:                             ;   in Loop: Header=BB6_1120 Depth=3
	s_or_b32 exec_lo, exec_lo, s15
	s_delay_alu instid0(SALU_CYCLE_1)
	s_or_not1_b32 s13, vcc_lo, exec_lo
	s_or_b32 exec_lo, exec_lo, s4
	s_and_saveexec_b32 s4, s13
	s_cbranch_execnz .LBB6_1143
.LBB6_1141:                             ;   in Loop: Header=BB6_1120 Depth=3
	s_or_b32 exec_lo, exec_lo, s4
	s_cbranch_execz .LBB6_1144
	s_branch .LBB6_1632
.LBB6_1142:                             ;   in Loop: Header=BB6_1120 Depth=3
	s_or_b32 exec_lo, exec_lo, s4
	s_and_saveexec_b32 s4, s13
	s_cbranch_execz .LBB6_1141
.LBB6_1143:                             ;   in Loop: Header=BB6_1120 Depth=3
	v_mul_lo_u32 v10, v3, v145
	v_mul_lo_u32 v11, v2, v146
	v_mad_u64_u32 v[8:9], null, v2, v145, 0
	s_delay_alu instid0(VALU_DEP_1)
	v_add3_u32 v9, v9, v11, v10
	s_or_b32 exec_lo, exec_lo, s4
	s_cbranch_execnz .LBB6_1632
.LBB6_1144:                             ;   in Loop: Header=BB6_1120 Depth=3
	s_delay_alu instid0(VALU_DEP_1) | instskip(SKIP_2) | instid1(VALU_DEP_2)
	v_lshlrev_b64 v[8:9], 3, v[8:9]
	v_and_b32_e32 v2, 0x2000, v30
	s_mov_b32 s4, exec_lo
	v_add_co_u32 v8, vcc_lo, v68, v8
	s_delay_alu instid0(VALU_DEP_3)
	v_add_co_ci_u32_e32 v9, vcc_lo, v69, v9, vcc_lo
	ds_store_b64 v0, v[8:9]
	v_cmpx_ne_u32_e32 0, v2
	s_cbranch_execz .LBB6_1146
; %bb.1145:                             ;   in Loop: Header=BB6_1120 Depth=3
	ds_load_b64 v[8:9], v0 offset:584
	s_waitcnt lgkmcnt(0)
	v_add_co_u32 v8, vcc_lo, v8, 1
	v_add_co_ci_u32_e32 v9, vcc_lo, 0, v9, vcc_lo
	ds_store_b64 v0, v[8:9] offset:584
.LBB6_1146:                             ;   in Loop: Header=BB6_1120 Depth=3
	s_or_b32 exec_lo, exec_lo, s4
	v_add_co_u32 v66, vcc_lo, v66, 2
	v_add_co_ci_u32_e32 v67, vcc_lo, 0, v67, vcc_lo
.LBB6_1147:                             ;   in Loop: Header=BB6_1120 Depth=3
	s_or_b32 exec_lo, exec_lo, s2
	s_and_saveexec_b32 s2, s3
	s_cbranch_execz .LBB6_1169
; %bb.1148:                             ;   in Loop: Header=BB6_1120 Depth=3
	s_and_saveexec_b32 s4, s41
	s_delay_alu instid0(SALU_CYCLE_1)
	s_xor_b32 s4, exec_lo, s4
	s_cbranch_execz .LBB6_1166
; %bb.1149:                             ;   in Loop: Header=BB6_1120 Depth=3
	s_and_saveexec_b32 s13, s1
	s_cbranch_execz .LBB6_1165
; %bb.1150:                             ;   in Loop: Header=BB6_1120 Depth=3
	s_mov_b32 s31, exec_lo
	s_mov_b32 s15, exec_lo
	v_mbcnt_lo_u32_b32 v2, s31, 0
	s_waitcnt lgkmcnt(0)
	s_waitcnt_vscnt null, 0x0
	buffer_gl1_inv
	buffer_gl0_inv
	v_cmpx_eq_u32_e32 0, v2
	s_cbranch_execz .LBB6_1152
; %bb.1151:                             ;   in Loop: Header=BB6_1120 Depth=3
	s_bcnt1_i32_b32 vcc_lo, s31
	s_delay_alu instid0(SALU_CYCLE_1)
	v_mov_b32_e32 v2, vcc_lo
	ds_add_u64 v0, v[2:3]
	s_cbranch_execnz .LBB6_1782
.LBB6_1152:                             ;   in Loop: Header=BB6_1120 Depth=3
	s_or_b32 exec_lo, exec_lo, s15
	s_cbranch_execnz .LBB6_1752
; %bb.1153:                             ;   in Loop: Header=BB6_1120 Depth=3
	ds_load_b64 v[8:9], v0
	v_add_co_u32 v80, vcc_lo, v80, v147
	v_add_co_ci_u32_e32 v81, vcc_lo, 0, v81, vcc_lo
	s_mov_b32 s15, exec_lo
	s_waitcnt lgkmcnt(0)
	s_delay_alu instid0(VALU_DEP_1)
	v_cmpx_lt_u64_e64 v[8:9], v[80:81]
	s_cbranch_execz .LBB6_1164
; %bb.1154:                             ;   in Loop: Header=BB6_1120 Depth=3
	s_mov_b32 s31, 0
	s_mov_b32 s36, 0
                                        ; implicit-def: $sgpr34
                                        ; implicit-def: $sgpr35
	s_branch .LBB6_1156
.LBB6_1155:                             ;   in Loop: Header=BB6_1156 Depth=4
	s_or_b32 exec_lo, exec_lo, s38
	s_delay_alu instid0(SALU_CYCLE_1) | instskip(NEXT) | instid1(SALU_CYCLE_1)
	s_and_b32 vcc_lo, exec_lo, vcc_lo
	s_or_b32 s31, vcc_lo, s31
	s_and_not1_b32 vcc_lo, s34, exec_lo
	s_and_b32 s34, s35, exec_lo
	s_delay_alu instid0(SALU_CYCLE_1)
	s_or_b32 s34, vcc_lo, s34
	s_and_not1_b32 exec_lo, exec_lo, s31
	s_cbranch_execz .LBB6_1162
.LBB6_1156:                             ;   Parent Loop BB6_55 Depth=1
                                        ;     Parent Loop BB6_911 Depth=2
                                        ;       Parent Loop BB6_1120 Depth=3
                                        ; =>      This Inner Loop Header: Depth=4
	s_add_i32 s36, s36, 1
                                        ; implicit-def: $sgpr38
	s_delay_alu instid0(SALU_CYCLE_1) | instskip(SKIP_1) | instid1(SALU_CYCLE_1)
	s_cmpk_lg_i32 s36, 0x2710
	s_cselect_b32 s37, -1, 0
	s_and_b32 vcc_lo, exec_lo, s37
	s_cbranch_vccz .LBB6_1160
.LBB6_1157:                             ;   in Loop: Header=BB6_1156 Depth=4
	s_and_not1_b32 s35, s35, exec_lo
	s_and_b32 s38, s38, exec_lo
	s_mov_b32 vcc_lo, -1
	s_or_b32 s35, s35, s38
	s_and_saveexec_b32 s38, s37
	s_cbranch_execz .LBB6_1155
; %bb.1158:                             ;   in Loop: Header=BB6_1156 Depth=4
	s_sleep 1
	s_cbranch_execnz .LBB6_1834
; %bb.1159:                             ;   in Loop: Header=BB6_1156 Depth=4
	ds_load_b64 v[8:9], v0
	s_and_not1_b32 s35, s35, exec_lo
	s_waitcnt lgkmcnt(0)
	v_cmp_ge_u64_e32 vcc_lo, v[8:9], v[80:81]
	s_or_not1_b32 vcc_lo, vcc_lo, exec_lo
	s_branch .LBB6_1155
.LBB6_1160:                             ;   in Loop: Header=BB6_1156 Depth=4
	s_cbranch_execnz .LBB6_1850
; %bb.1161:                             ;   in Loop: Header=BB6_1156 Depth=4
	ds_load_b64 v[8:9], v0
	s_and_not1_b32 s37, s37, exec_lo
	s_mov_b32 s36, 0
	s_mov_b32 s38, -1
	s_waitcnt lgkmcnt(0)
	flat_load_b32 v2, v[8:9] glc
	s_waitcnt vmcnt(0) lgkmcnt(0)
	buffer_gl1_inv
	buffer_gl0_inv
	v_cmp_eq_u32_e32 vcc_lo, 0, v2
	s_and_b32 vcc_lo, vcc_lo, exec_lo
	s_delay_alu instid0(SALU_CYCLE_1)
	s_or_b32 s37, s37, vcc_lo
	s_branch .LBB6_1157
.LBB6_1162:                             ;   in Loop: Header=BB6_1120 Depth=3
	s_or_b32 exec_lo, exec_lo, s31
	s_and_saveexec_b32 vcc_lo, s34
	s_delay_alu instid0(SALU_CYCLE_1)
	s_xor_b32 vcc_lo, exec_lo, vcc_lo
	s_cbranch_execz .LBB6_1164
; %bb.1163:                             ;   in Loop: Header=BB6_1120 Depth=3
	ds_store_b32 v0, v41
	s_cbranch_execnz .LBB6_1964
.LBB6_1164:                             ;   in Loop: Header=BB6_1120 Depth=3
	s_or_b32 exec_lo, exec_lo, s15
	;;#ASMSTART
	s_wakeup
	;;#ASMEND
.LBB6_1165:                             ;   in Loop: Header=BB6_1120 Depth=3
	s_or_b32 exec_lo, exec_lo, s13
.LBB6_1166:                             ;   in Loop: Header=BB6_1120 Depth=3
	s_and_not1_saveexec_b32 s4, s4
	s_cbranch_execz .LBB6_1168
; %bb.1167:                             ;   in Loop: Header=BB6_1120 Depth=3
	s_waitcnt lgkmcnt(0)
	s_waitcnt_vscnt null, 0x0
	buffer_gl1_inv
	buffer_gl0_inv
	s_barrier
.LBB6_1168:                             ;   in Loop: Header=BB6_1120 Depth=3
	s_or_b32 exec_lo, exec_lo, s4
.LBB6_1169:                             ;   in Loop: Header=BB6_1120 Depth=3
	s_delay_alu instid0(SALU_CYCLE_1) | instskip(SKIP_1) | instid1(SALU_CYCLE_1)
	s_or_b32 exec_lo, exec_lo, s2
                                        ; implicit-def: $vgpr2
	s_and_saveexec_b32 s2, s7
	s_xor_b32 s2, exec_lo, s2
	s_cbranch_execz .LBB6_1174
; %bb.1170:                             ;   in Loop: Header=BB6_1120 Depth=3
	s_cbranch_execnz .LBB6_1664
; %bb.1171:                             ;   in Loop: Header=BB6_1120 Depth=3
	ds_load_b32 v2, v0
	v_cmp_lt_i32_e32 vcc_lo, 0, v12
	s_waitcnt lgkmcnt(0)
	v_readfirstlane_b32 s4, v2
	v_and_b32_e32 v2, 16, v30
	s_delay_alu instid0(VALU_DEP_2) | instskip(NEXT) | instid1(VALU_DEP_1)
	s_cmp_eq_u32 s4, 0
	v_cmp_ne_u32_e64 s13, 0, v2
	s_cselect_b32 s4, -1, 0
	v_and_b32_e32 v2, 16, v30
	s_and_b32 s4, vcc_lo, s4
	s_delay_alu instid0(VALU_DEP_2) | instid1(SALU_CYCLE_1)
	s_and_b32 s13, s13, s4
	s_delay_alu instid0(SALU_CYCLE_1)
	s_and_saveexec_b32 s4, s13
	s_cbranch_execz .LBB6_1173
; %bb.1172:                             ;   in Loop: Header=BB6_1120 Depth=3
	v_mov_b32_e32 v2, 1
	s_waitcnt_vscnt null, 0x0
	buffer_gl1_inv
	buffer_gl0_inv
.LBB6_1173:                             ;   in Loop: Header=BB6_1120 Depth=3
	s_or_b32 exec_lo, exec_lo, s4
.LBB6_1174:                             ;   in Loop: Header=BB6_1120 Depth=3
	s_and_not1_saveexec_b32 s2, s2
	s_cbranch_execz .LBB6_1196
; %bb.1175:                             ;   in Loop: Header=BB6_1120 Depth=3
	s_and_saveexec_b32 s4, s41
	s_delay_alu instid0(SALU_CYCLE_1)
	s_xor_b32 s4, exec_lo, s4
	s_cbranch_execz .LBB6_1193
; %bb.1176:                             ;   in Loop: Header=BB6_1120 Depth=3
	s_and_saveexec_b32 s13, s1
	s_cbranch_execz .LBB6_1192
; %bb.1177:                             ;   in Loop: Header=BB6_1120 Depth=3
	s_mov_b32 s31, exec_lo
	s_mov_b32 s15, exec_lo
	v_mbcnt_lo_u32_b32 v2, s31, 0
	;;#ASMSTART
	s_waitcnt lgkmcnt(0) vmcnt(0)
	;;#ASMEND
	s_delay_alu instid0(VALU_DEP_1)
	v_cmpx_eq_u32_e32 0, v2
	s_cbranch_execz .LBB6_1179
; %bb.1178:                             ;   in Loop: Header=BB6_1120 Depth=3
	s_bcnt1_i32_b32 vcc_lo, s31
	s_delay_alu instid0(SALU_CYCLE_1)
	v_mov_b32_e32 v2, vcc_lo
	ds_add_u64 v0, v[2:3]
	s_cbranch_execnz .LBB6_1804
.LBB6_1179:                             ;   in Loop: Header=BB6_1120 Depth=3
	s_or_b32 exec_lo, exec_lo, s15
	s_cbranch_execnz .LBB6_1780
; %bb.1180:                             ;   in Loop: Header=BB6_1120 Depth=3
	ds_load_b64 v[8:9], v0
	v_add_co_u32 v80, vcc_lo, v80, v147
	v_add_co_ci_u32_e32 v81, vcc_lo, 0, v81, vcc_lo
	s_mov_b32 s15, exec_lo
	s_waitcnt lgkmcnt(0)
	s_delay_alu instid0(VALU_DEP_1)
	v_cmpx_lt_u64_e64 v[8:9], v[80:81]
	s_cbranch_execz .LBB6_1191
; %bb.1181:                             ;   in Loop: Header=BB6_1120 Depth=3
	s_mov_b32 s31, 0
	s_mov_b32 s36, 0
                                        ; implicit-def: $sgpr34
                                        ; implicit-def: $sgpr35
	s_branch .LBB6_1183
.LBB6_1182:                             ;   in Loop: Header=BB6_1183 Depth=4
	s_or_b32 exec_lo, exec_lo, s38
	s_delay_alu instid0(SALU_CYCLE_1) | instskip(NEXT) | instid1(SALU_CYCLE_1)
	s_and_b32 vcc_lo, exec_lo, vcc_lo
	s_or_b32 s31, vcc_lo, s31
	s_and_not1_b32 vcc_lo, s34, exec_lo
	s_and_b32 s34, s35, exec_lo
	s_delay_alu instid0(SALU_CYCLE_1)
	s_or_b32 s34, vcc_lo, s34
	s_and_not1_b32 exec_lo, exec_lo, s31
	s_cbranch_execz .LBB6_1189
.LBB6_1183:                             ;   Parent Loop BB6_55 Depth=1
                                        ;     Parent Loop BB6_911 Depth=2
                                        ;       Parent Loop BB6_1120 Depth=3
                                        ; =>      This Inner Loop Header: Depth=4
	s_add_i32 s36, s36, 1
                                        ; implicit-def: $sgpr38
	s_delay_alu instid0(SALU_CYCLE_1) | instskip(SKIP_1) | instid1(SALU_CYCLE_1)
	s_cmpk_lg_i32 s36, 0x2710
	s_cselect_b32 s37, -1, 0
	s_and_b32 vcc_lo, exec_lo, s37
	s_cbranch_vccz .LBB6_1187
.LBB6_1184:                             ;   in Loop: Header=BB6_1183 Depth=4
	s_and_not1_b32 s35, s35, exec_lo
	s_and_b32 s38, s38, exec_lo
	s_mov_b32 vcc_lo, -1
	s_or_b32 s35, s35, s38
	s_and_saveexec_b32 s38, s37
	s_cbranch_execz .LBB6_1182
; %bb.1185:                             ;   in Loop: Header=BB6_1183 Depth=4
	s_sleep 1
	s_cbranch_execnz .LBB6_1860
; %bb.1186:                             ;   in Loop: Header=BB6_1183 Depth=4
	ds_load_b64 v[8:9], v0
	s_and_not1_b32 s35, s35, exec_lo
	s_waitcnt lgkmcnt(0)
	v_cmp_ge_u64_e32 vcc_lo, v[8:9], v[80:81]
	s_or_not1_b32 vcc_lo, vcc_lo, exec_lo
	s_branch .LBB6_1182
.LBB6_1187:                             ;   in Loop: Header=BB6_1183 Depth=4
	s_cbranch_execnz .LBB6_1872
; %bb.1188:                             ;   in Loop: Header=BB6_1183 Depth=4
	ds_load_b64 v[8:9], v0
	s_and_not1_b32 s37, s37, exec_lo
	s_mov_b32 s36, 0
	s_mov_b32 s38, -1
	s_waitcnt lgkmcnt(0)
	s_waitcnt_vscnt null, 0x0
	flat_load_b32 v2, v[8:9] glc
	s_waitcnt vmcnt(0) lgkmcnt(0)
	buffer_gl1_inv
	buffer_gl0_inv
	v_cmp_eq_u32_e32 vcc_lo, 0, v2
	s_and_b32 vcc_lo, vcc_lo, exec_lo
	s_delay_alu instid0(SALU_CYCLE_1)
	s_or_b32 s37, s37, vcc_lo
	s_branch .LBB6_1184
.LBB6_1189:                             ;   in Loop: Header=BB6_1120 Depth=3
	s_or_b32 exec_lo, exec_lo, s31
	s_and_saveexec_b32 vcc_lo, s34
	s_delay_alu instid0(SALU_CYCLE_1)
	s_xor_b32 vcc_lo, exec_lo, vcc_lo
	s_cbranch_execz .LBB6_1191
; %bb.1190:                             ;   in Loop: Header=BB6_1120 Depth=3
	ds_store_b32 v0, v41
	s_cbranch_execnz .LBB6_1972
.LBB6_1191:                             ;   in Loop: Header=BB6_1120 Depth=3
	s_or_b32 exec_lo, exec_lo, s15
	;;#ASMSTART
	s_wakeup
	;;#ASMEND
.LBB6_1192:                             ;   in Loop: Header=BB6_1120 Depth=3
	s_or_b32 exec_lo, exec_lo, s13
.LBB6_1193:                             ;   in Loop: Header=BB6_1120 Depth=3
	s_and_not1_saveexec_b32 s4, s4
	s_cbranch_execz .LBB6_1195
; %bb.1194:                             ;   in Loop: Header=BB6_1120 Depth=3
	;;#ASMSTART
	s_waitcnt lgkmcnt(0) vmcnt(0)
	;;#ASMEND
	s_waitcnt lgkmcnt(0)
	s_waitcnt_vscnt null, 0x0
	s_barrier
.LBB6_1195:                             ;   in Loop: Header=BB6_1120 Depth=3
	s_or_b32 exec_lo, exec_lo, s4
	v_and_b32_e32 v2, 16, v30
.LBB6_1196:                             ;   in Loop: Header=BB6_1120 Depth=3
	s_or_b32 exec_lo, exec_lo, s2
	s_delay_alu instid0(VALU_DEP_1) | instskip(SKIP_1) | instid1(SALU_CYCLE_1)
	v_cmp_ne_u32_e32 vcc_lo, 0, v2
	s_xor_b32 s2, s10, -1
	s_and_b32 s4, vcc_lo, s2
	s_delay_alu instid0(SALU_CYCLE_1)
	s_and_saveexec_b32 s2, s4
	s_cbranch_execz .LBB6_1198
; %bb.1197:                             ;   in Loop: Header=BB6_1120 Depth=3
	s_waitcnt lgkmcnt(0)
	s_waitcnt_vscnt null, 0x0
	flat_store_b32 v[70:71], v41
.LBB6_1198:                             ;   in Loop: Header=BB6_1120 Depth=3
	s_or_b32 exec_lo, exec_lo, s2
	v_and_b32_e32 v2, 48, v30
	s_mov_b32 s2, exec_lo
	s_delay_alu instid0(VALU_DEP_1)
	v_cmpx_ne_u32_e32 0, v2
	s_cbranch_execz .LBB6_1200
; %bb.1199:                             ;   in Loop: Header=BB6_1120 Depth=3
	v_add_co_u32 v66, vcc_lo, v66, 2
	v_add_co_ci_u32_e32 v67, vcc_lo, 0, v67, vcc_lo
	s_waitcnt lgkmcnt(0)
	s_waitcnt_vscnt null, 0x0
	flat_store_b64 v[64:65], v[66:67]
.LBB6_1200:                             ;   in Loop: Header=BB6_1120 Depth=3
	s_or_b32 exec_lo, exec_lo, s2
	v_add_nc_u32_e32 v14, v12, v14
	s_mov_b32 s2, 0
	s_and_not1_b32 exec_lo, exec_lo, s14
	s_cbranch_execnz .LBB6_1120
; %bb.1201:                             ;   in Loop: Header=BB6_911 Depth=2
	s_or_b32 exec_lo, exec_lo, s14
.LBB6_1202:                             ;   in Loop: Header=BB6_911 Depth=2
	s_delay_alu instid0(SALU_CYCLE_1)
	s_or_b32 exec_lo, exec_lo, s11
	s_add_i32 s2, s30, 1
	s_cmp_eq_u32 s30, s20
	s_cbranch_scc1 .LBB6_1204
; %bb.1203:                             ;   in Loop: Header=BB6_911 Depth=2
	s_mov_b32 s30, s2
	s_branch .LBB6_911
.LBB6_1204:                             ;   in Loop: Header=BB6_55 Depth=1
	s_mov_b32 s2, s24
	v_mul_lo_u32 v8, v96, s16
	v_mul_lo_u32 v2, v97, s2
	v_mad_u64_u32 v[9:10], null, v96, s2, 0
	s_mov_b32 s30, 0
	s_delay_alu instid0(VALU_DEP_1) | instskip(NEXT) | instid1(VALU_DEP_2)
	v_add3_u32 v10, v10, v8, v2
	v_sub_co_u32 v11, vcc_lo, v98, v9
	s_delay_alu instid0(VALU_DEP_2) | instskip(NEXT) | instid1(VALU_DEP_1)
	v_sub_co_ci_u32_e32 v12, vcc_lo, v99, v10, vcc_lo
	v_cmp_lt_i64_e32 vcc_lo, v[96:97], v[11:12]
	v_cndmask_b32_e32 v8, v11, v96, vcc_lo
	s_delay_alu instid0(VALU_DEP_1) | instskip(NEXT) | instid1(VALU_DEP_1)
	v_max_i32_e32 v16, 0, v8
	v_add_nc_u32_e32 v2, 31, v16
	s_delay_alu instid0(VALU_DEP_1) | instskip(NEXT) | instid1(VALU_DEP_1)
	v_lshrrev_b32_e32 v2, 1, v2
	v_and_b32_e32 v11, 0x3ffffff0, v2
	v_cmp_lt_i32_e32 vcc_lo, 0, v8
	v_mov_b32_e32 v2, 0
	v_mov_b32_e32 v8, 0
	s_delay_alu instid0(VALU_DEP_4) | instskip(SKIP_1) | instid1(SALU_CYCLE_1)
	v_max_i32_e32 v17, s19, v11
	s_and_b32 s2, s17, vcc_lo
	s_and_saveexec_b32 s15, s2
	s_cbranch_execz .LBB6_1366
; %bb.1205:                             ;   in Loop: Header=BB6_55 Depth=1
	v_add_co_u32 v8, vcc_lo, v9, v100
	v_add_co_ci_u32_e32 v9, vcc_lo, v10, v101, vcc_lo
	s_mov_b32 s34, 1
	s_mov_b32 s31, -1
	s_delay_alu instid0(VALU_DEP_1)
	v_lshlrev_b64 v[10:11], 3, v[8:9]
	v_mov_b32_e32 v8, 0
.LBB6_1206:                             ;   Parent Loop BB6_55 Depth=1
                                        ; =>  This Loop Header: Depth=2
                                        ;       Child Loop BB6_1215 Depth 3
                                        ;       Child Loop BB6_1242 Depth 3
	;; [unrolled: 1-line block ×9, first 2 shown]
	s_and_saveexec_b32 s2, s0
	s_cbranch_execz .LBB6_1209
; %bb.1207:                             ;   in Loop: Header=BB6_1206 Depth=2
	s_cbranch_execnz .LBB6_1616
; %bb.1208:                             ;   in Loop: Header=BB6_1206 Depth=2
	ds_load_b128 v[12:15], v0
	v_ashrrev_i32_e32 v9, 31, v8
	s_delay_alu instid0(VALU_DEP_1)
	v_lshlrev_b64 v[18:19], 3, v[8:9]
	s_waitcnt lgkmcnt(0)
	v_add_co_u32 v2, vcc_lo, v14, v10
	v_add_co_ci_u32_e32 v9, vcc_lo, v15, v11, vcc_lo
	v_add_co_u32 v12, vcc_lo, v12, v10
	v_add_co_ci_u32_e32 v13, vcc_lo, v13, v11, vcc_lo
	s_delay_alu instid0(VALU_DEP_4) | instskip(NEXT) | instid1(VALU_DEP_4)
	v_add_co_u32 v2, vcc_lo, v2, v18
	v_add_co_ci_u32_e32 v9, vcc_lo, v9, v19, vcc_lo
	v_cmp_ne_u64_e32 vcc_lo, 0, v[14:15]
	v_add_co_u32 v12, s13, v12, v18
	s_delay_alu instid0(VALU_DEP_1) | instskip(NEXT) | instid1(VALU_DEP_4)
	v_add_co_ci_u32_e64 v13, s13, v13, v19, s13
	v_dual_cndmask_b32 v15, 0, v9 :: v_dual_cndmask_b32 v14, 0, v2
	ds_store_b64 v0, v[12:13]
	ds_store_b64 v0, v[14:15]
.LBB6_1209:                             ;   in Loop: Header=BB6_1206 Depth=2
	s_or_b32 exec_lo, exec_lo, s2
	v_and_b32_e32 v2, 4, v30
	s_mov_b32 s4, -1
	s_mov_b32 s2, exec_lo
	s_delay_alu instid0(VALU_DEP_1)
	v_cmpx_ne_u32_e32 0, v2
	s_cbranch_execz .LBB6_1223
; %bb.1210:                             ;   in Loop: Header=BB6_1206 Depth=2
	v_add_co_u32 v12, vcc_lo, v66, 2
	v_add_co_ci_u32_e32 v13, vcc_lo, 0, v67, vcc_lo
	v_mov_b32_e32 v2, 1
	s_mov_b32 s4, exec_lo
	s_delay_alu instid0(VALU_DEP_2)
	v_cmpx_lt_u64_e64 v[82:83], v[12:13]
	s_cbranch_execz .LBB6_1222
; %bb.1211:                             ;   in Loop: Header=BB6_1206 Depth=2
	v_mov_b32_e32 v2, 0
	s_mov_b32 s11, 0
                                        ; implicit-def: $sgpr13
	s_branch .LBB6_1215
.LBB6_1212:                             ;   in Loop: Header=BB6_1215 Depth=3
	s_or_b32 exec_lo, exec_lo, s37
	v_mov_b32_e32 v9, 0
	s_or_not1_b32 s36, s36, exec_lo
.LBB6_1213:                             ;   in Loop: Header=BB6_1215 Depth=3
	s_or_b32 exec_lo, exec_lo, s35
	s_delay_alu instid0(VALU_DEP_1) | instskip(SKIP_2) | instid1(SALU_CYCLE_1)
	v_mov_b32_e32 v2, v9
	s_and_not1_b32 s13, s13, exec_lo
	s_and_b32 vcc_lo, s36, exec_lo
	s_or_b32 s13, s13, vcc_lo
.LBB6_1214:                             ;   in Loop: Header=BB6_1215 Depth=3
	s_or_b32 exec_lo, exec_lo, s14
	s_waitcnt vmcnt(0) lgkmcnt(0)
	v_cmp_ge_u64_e32 vcc_lo, v[82:83], v[12:13]
	s_xor_b32 s14, s13, -1
	s_delay_alu instid0(SALU_CYCLE_1) | instskip(NEXT) | instid1(SALU_CYCLE_1)
	s_or_b32 s14, s14, vcc_lo
	s_and_b32 s14, exec_lo, s14
	s_delay_alu instid0(SALU_CYCLE_1) | instskip(NEXT) | instid1(SALU_CYCLE_1)
	s_or_b32 s11, s14, s11
	s_and_not1_b32 exec_lo, exec_lo, s11
	s_cbranch_execz .LBB6_1221
.LBB6_1215:                             ;   Parent Loop BB6_55 Depth=1
                                        ;     Parent Loop BB6_1206 Depth=2
                                        ; =>    This Inner Loop Header: Depth=3
	s_sleep 1
	flat_load_b64 v[82:83], v[64:65] glc
	v_and_b32_e32 v9, 64, v30
	s_and_not1_b32 s13, s13, exec_lo
	s_mov_b32 s14, exec_lo
	s_delay_alu instid0(VALU_DEP_1)
	v_cmpx_eq_u32_e32 0, v9
	s_cbranch_execz .LBB6_1214
; %bb.1216:                             ;   in Loop: Header=BB6_1215 Depth=3
	v_add_nc_u32_e32 v9, 1, v2
	s_mov_b32 s36, -1
	s_mov_b32 s35, exec_lo
	v_cmpx_lt_i32_e32 0x270e, v2
	s_cbranch_execz .LBB6_1213
; %bb.1217:                             ;   in Loop: Header=BB6_1215 Depth=3
	s_cbranch_execnz .LBB6_1660
; %bb.1218:                             ;   in Loop: Header=BB6_1215 Depth=3
	ds_load_b64 v[14:15], v0
	s_mov_b32 s37, exec_lo
	s_waitcnt vmcnt(0) lgkmcnt(0)
	s_waitcnt_vscnt null, 0x0
	flat_load_b32 v2, v[14:15] glc
	s_waitcnt vmcnt(0) lgkmcnt(0)
	buffer_gl1_inv
	buffer_gl0_inv
	v_cmpx_ne_u32_e32 0, v2
	s_cbranch_execz .LBB6_1212
; %bb.1219:                             ;   in Loop: Header=BB6_1215 Depth=3
	ds_store_b32 v0, v2
	s_cbranch_execnz .LBB6_1738
; %bb.1220:                             ;   in Loop: Header=BB6_1215 Depth=3
	v_or_b32_e32 v30, 64, v30
	s_xor_b32 s36, exec_lo, -1
	s_branch .LBB6_1212
.LBB6_1221:                             ;   in Loop: Header=BB6_1206 Depth=2
	s_or_b32 exec_lo, exec_lo, s11
	v_and_b32_e32 v2, 4, v30
.LBB6_1222:                             ;   in Loop: Header=BB6_1206 Depth=2
	s_or_b32 exec_lo, exec_lo, s4
	s_delay_alu instid0(VALU_DEP_1)
	v_cmp_eq_u32_e32 vcc_lo, 0, v2
	;;#ASMSTART
	s_wakeup
	;;#ASMEND
	s_or_not1_b32 s4, vcc_lo, exec_lo
.LBB6_1223:                             ;   in Loop: Header=BB6_1206 Depth=2
	s_or_b32 exec_lo, exec_lo, s2
	s_xor_b32 s4, s4, -1
	s_delay_alu instid0(SALU_CYCLE_1)
	s_and_saveexec_b32 s2, s4
	s_cbranch_execz .LBB6_1233
; %bb.1224:                             ;   in Loop: Header=BB6_1206 Depth=2
	v_and_b32_e32 v2, 0x100, v30
	s_mov_b32 s11, -1
                                        ; implicit-def: $vgpr12_vgpr13
	s_delay_alu instid0(VALU_DEP_1)
	v_cmp_ne_u32_e32 vcc_lo, 0, v2
	v_and_b32_e32 v2, 7, v66
	s_and_saveexec_b32 s4, vcc_lo
	s_cbranch_execz .LBB6_1228
; %bb.1225:                             ;   in Loop: Header=BB6_1206 Depth=2
	s_delay_alu instid0(VALU_DEP_1)
	v_mad_u64_u32 v[14:15], null, v2, 24, v[6:7]
	s_mov_b32 s11, exec_lo
                                        ; implicit-def: $vgpr12_vgpr13
	flat_load_b32 v9, v[14:15]
	s_waitcnt vmcnt(0) lgkmcnt(0)
	v_cmp_ne_u32_e32 vcc_lo, 1, v9
	v_cmpx_eq_u32_e32 1, v9
	s_cbranch_execz .LBB6_1227
; %bb.1226:                             ;   in Loop: Header=BB6_1206 Depth=2
	flat_load_b32 v12, v[14:15] offset:4 glc
	s_waitcnt vmcnt(0) lgkmcnt(0)
	v_ashrrev_i32_e32 v13, 31, v12
	s_delay_alu instid0(VALU_DEP_1)
	v_lshrrev_b64 v[12:13], 3, v[12:13]
.LBB6_1227:                             ;   in Loop: Header=BB6_1206 Depth=2
	s_or_b32 exec_lo, exec_lo, s11
	s_delay_alu instid0(SALU_CYCLE_1)
	s_or_not1_b32 s11, vcc_lo, exec_lo
.LBB6_1228:                             ;   in Loop: Header=BB6_1206 Depth=2
	s_or_b32 exec_lo, exec_lo, s4
	s_and_saveexec_b32 s4, s11
; %bb.1229:                             ;   in Loop: Header=BB6_1206 Depth=2
	v_mad_i64_i32 v[12:13], null, v2, v145, 0
; %bb.1230:                             ;   in Loop: Header=BB6_1206 Depth=2
	s_or_b32 exec_lo, exec_lo, s4
	s_delay_alu instid0(VALU_DEP_1) | instskip(SKIP_2) | instid1(VALU_DEP_2)
	v_lshlrev_b64 v[12:13], 3, v[12:13]
	v_and_b32_e32 v2, 0x2000, v30
	s_mov_b32 s4, exec_lo
	v_add_co_u32 v12, vcc_lo, v68, v12
	s_delay_alu instid0(VALU_DEP_3)
	v_add_co_ci_u32_e32 v13, vcc_lo, v69, v13, vcc_lo
	ds_store_b64 v0, v[12:13] offset:720
	v_cmpx_ne_u32_e32 0, v2
	s_cbranch_execz .LBB6_1232
; %bb.1231:                             ;   in Loop: Header=BB6_1206 Depth=2
	ds_load_b64 v[12:13], v0 offset:584
	s_waitcnt lgkmcnt(0)
	v_add_co_u32 v12, vcc_lo, v12, 1
	v_add_co_ci_u32_e32 v13, vcc_lo, 0, v13, vcc_lo
	ds_store_b64 v0, v[12:13] offset:584
.LBB6_1232:                             ;   in Loop: Header=BB6_1206 Depth=2
	s_or_b32 exec_lo, exec_lo, s4
	v_add_co_u32 v66, vcc_lo, v66, 2
	v_add_co_ci_u32_e32 v67, vcc_lo, 0, v67, vcc_lo
.LBB6_1233:                             ;   in Loop: Header=BB6_1206 Depth=2
	s_or_b32 exec_lo, exec_lo, s2
	s_and_saveexec_b32 s2, s3
	s_cbranch_execz .LBB6_1255
; %bb.1234:                             ;   in Loop: Header=BB6_1206 Depth=2
	s_and_saveexec_b32 s4, s41
	s_delay_alu instid0(SALU_CYCLE_1)
	s_xor_b32 s4, exec_lo, s4
	s_cbranch_execz .LBB6_1252
; %bb.1235:                             ;   in Loop: Header=BB6_1206 Depth=2
	s_and_saveexec_b32 s11, s1
	s_cbranch_execz .LBB6_1251
; %bb.1236:                             ;   in Loop: Header=BB6_1206 Depth=2
	s_mov_b32 s14, exec_lo
	s_mov_b32 s13, exec_lo
	v_mbcnt_lo_u32_b32 v2, s14, 0
	s_waitcnt lgkmcnt(0)
	s_waitcnt_vscnt null, 0x0
	buffer_gl1_inv
	buffer_gl0_inv
	v_cmpx_eq_u32_e32 0, v2
	s_cbranch_execz .LBB6_1238
; %bb.1237:                             ;   in Loop: Header=BB6_1206 Depth=2
	s_bcnt1_i32_b32 s14, s14
	s_delay_alu instid0(SALU_CYCLE_1)
	v_mov_b32_e32 v2, s14
	ds_add_u64 v0, v[2:3]
	s_cbranch_execnz .LBB6_1774
.LBB6_1238:                             ;   in Loop: Header=BB6_1206 Depth=2
	s_or_b32 exec_lo, exec_lo, s13
	s_cbranch_execnz .LBB6_1746
; %bb.1239:                             ;   in Loop: Header=BB6_1206 Depth=2
	ds_load_b64 v[12:13], v0
	v_add_co_u32 v80, vcc_lo, v80, v147
	v_add_co_ci_u32_e32 v81, vcc_lo, 0, v81, vcc_lo
	s_mov_b32 s13, exec_lo
	s_waitcnt lgkmcnt(0)
	s_delay_alu instid0(VALU_DEP_1)
	v_cmpx_lt_u64_e64 v[12:13], v[80:81]
	s_cbranch_execz .LBB6_1250
; %bb.1240:                             ;   in Loop: Header=BB6_1206 Depth=2
	s_mov_b32 s14, 0
	s_mov_b32 s37, 0
                                        ; implicit-def: $sgpr35
                                        ; implicit-def: $sgpr36
	s_branch .LBB6_1242
.LBB6_1241:                             ;   in Loop: Header=BB6_1242 Depth=3
	s_or_b32 exec_lo, exec_lo, s39
	s_delay_alu instid0(SALU_CYCLE_1) | instskip(NEXT) | instid1(SALU_CYCLE_1)
	s_and_b32 vcc_lo, exec_lo, vcc_lo
	s_or_b32 s14, vcc_lo, s14
	s_and_not1_b32 vcc_lo, s35, exec_lo
	s_and_b32 s35, s36, exec_lo
	s_delay_alu instid0(SALU_CYCLE_1)
	s_or_b32 s35, vcc_lo, s35
	s_and_not1_b32 exec_lo, exec_lo, s14
	s_cbranch_execz .LBB6_1248
.LBB6_1242:                             ;   Parent Loop BB6_55 Depth=1
                                        ;     Parent Loop BB6_1206 Depth=2
                                        ; =>    This Inner Loop Header: Depth=3
	s_add_i32 s37, s37, 1
                                        ; implicit-def: $sgpr39
	s_delay_alu instid0(SALU_CYCLE_1) | instskip(SKIP_1) | instid1(SALU_CYCLE_1)
	s_cmpk_lg_i32 s37, 0x2710
	s_cselect_b32 s38, -1, 0
	s_and_b32 vcc_lo, exec_lo, s38
	s_cbranch_vccz .LBB6_1246
.LBB6_1243:                             ;   in Loop: Header=BB6_1242 Depth=3
	s_and_not1_b32 s36, s36, exec_lo
	s_and_b32 s39, s39, exec_lo
	s_mov_b32 vcc_lo, -1
	s_or_b32 s36, s36, s39
	s_and_saveexec_b32 s39, s38
	s_cbranch_execz .LBB6_1241
; %bb.1244:                             ;   in Loop: Header=BB6_1242 Depth=3
	s_sleep 1
	s_cbranch_execnz .LBB6_1826
; %bb.1245:                             ;   in Loop: Header=BB6_1242 Depth=3
	ds_load_b64 v[12:13], v0
	s_and_not1_b32 s36, s36, exec_lo
	s_waitcnt lgkmcnt(0)
	v_cmp_ge_u64_e32 vcc_lo, v[12:13], v[80:81]
	s_or_not1_b32 vcc_lo, vcc_lo, exec_lo
	s_branch .LBB6_1241
.LBB6_1246:                             ;   in Loop: Header=BB6_1242 Depth=3
	s_cbranch_execnz .LBB6_1840
; %bb.1247:                             ;   in Loop: Header=BB6_1242 Depth=3
	ds_load_b64 v[12:13], v0
	s_and_not1_b32 s38, s38, exec_lo
	s_mov_b32 s37, 0
	s_mov_b32 s39, -1
	s_waitcnt lgkmcnt(0)
	flat_load_b32 v2, v[12:13] glc
	s_waitcnt vmcnt(0) lgkmcnt(0)
	buffer_gl1_inv
	buffer_gl0_inv
	v_cmp_eq_u32_e32 vcc_lo, 0, v2
	s_and_b32 vcc_lo, vcc_lo, exec_lo
	s_delay_alu instid0(SALU_CYCLE_1)
	s_or_b32 s38, s38, vcc_lo
	s_branch .LBB6_1243
.LBB6_1248:                             ;   in Loop: Header=BB6_1206 Depth=2
	s_or_b32 exec_lo, exec_lo, s14
	s_and_saveexec_b32 s14, s35
	s_delay_alu instid0(SALU_CYCLE_1)
	s_xor_b32 s14, exec_lo, s14
	s_cbranch_execz .LBB6_1250
; %bb.1249:                             ;   in Loop: Header=BB6_1206 Depth=2
	ds_store_b32 v0, v41
	s_cbranch_execnz .LBB6_1960
.LBB6_1250:                             ;   in Loop: Header=BB6_1206 Depth=2
	s_or_b32 exec_lo, exec_lo, s13
	;;#ASMSTART
	s_wakeup
	;;#ASMEND
.LBB6_1251:                             ;   in Loop: Header=BB6_1206 Depth=2
	s_or_b32 exec_lo, exec_lo, s11
.LBB6_1252:                             ;   in Loop: Header=BB6_1206 Depth=2
	s_and_not1_saveexec_b32 s4, s4
	s_cbranch_execz .LBB6_1254
; %bb.1253:                             ;   in Loop: Header=BB6_1206 Depth=2
	s_waitcnt lgkmcnt(0)
	s_waitcnt_vscnt null, 0x0
	buffer_gl1_inv
	buffer_gl0_inv
	s_barrier
.LBB6_1254:                             ;   in Loop: Header=BB6_1206 Depth=2
	s_or_b32 exec_lo, exec_lo, s4
.LBB6_1255:                             ;   in Loop: Header=BB6_1206 Depth=2
	s_delay_alu instid0(SALU_CYCLE_1)
	s_or_b32 exec_lo, exec_lo, s2
	s_cbranch_execnz .LBB6_1610
; %bb.1256:                             ;   in Loop: Header=BB6_1206 Depth=2
	ds_load_b32 v12, v0
	v_and_b32_e32 v2, 0x4000, v30
	v_readlane_b32 s2, v74, 0
	s_delay_alu instid0(VALU_DEP_2) | instskip(NEXT) | instid1(VALU_DEP_2)
	v_cmp_ne_u32_e32 vcc_lo, 0, v2
	s_xor_b32 s2, s2, -1
	s_delay_alu instid0(SALU_CYCLE_1) | instskip(NEXT) | instid1(SALU_CYCLE_1)
	s_and_b32 s4, s2, vcc_lo
	s_and_saveexec_b32 s2, s4
	s_cbranch_execz .LBB6_1278
; %bb.1257:                             ;   in Loop: Header=BB6_1206 Depth=2
	s_and_saveexec_b32 s4, s41
	s_delay_alu instid0(SALU_CYCLE_1)
	s_xor_b32 s4, exec_lo, s4
	s_cbranch_execz .LBB6_1275
; %bb.1258:                             ;   in Loop: Header=BB6_1206 Depth=2
	s_and_saveexec_b32 s11, s1
	s_cbranch_execz .LBB6_1274
; %bb.1259:                             ;   in Loop: Header=BB6_1206 Depth=2
	s_mov_b32 s14, exec_lo
	s_mov_b32 s13, exec_lo
	v_mbcnt_lo_u32_b32 v2, s14, 0
	s_waitcnt lgkmcnt(0)
	s_waitcnt_vscnt null, 0x0
	buffer_gl1_inv
	buffer_gl0_inv
	v_cmpx_eq_u32_e32 0, v2
	s_cbranch_execz .LBB6_1261
; %bb.1260:                             ;   in Loop: Header=BB6_1206 Depth=2
	s_bcnt1_i32_b32 s14, s14
	s_delay_alu instid0(SALU_CYCLE_1)
	v_mov_b32_e32 v2, s14
	ds_add_u64 v0, v[2:3]
	s_cbranch_execnz .LBB6_1818
.LBB6_1261:                             ;   in Loop: Header=BB6_1206 Depth=2
	s_or_b32 exec_lo, exec_lo, s13
	s_cbranch_execnz .LBB6_1798
; %bb.1262:                             ;   in Loop: Header=BB6_1206 Depth=2
	ds_load_b64 v[13:14], v0
	v_add_co_u32 v80, vcc_lo, v80, v147
	v_add_co_ci_u32_e32 v81, vcc_lo, 0, v81, vcc_lo
	s_mov_b32 s13, exec_lo
	s_waitcnt lgkmcnt(0)
	s_delay_alu instid0(VALU_DEP_1)
	v_cmpx_lt_u64_e64 v[13:14], v[80:81]
	s_cbranch_execz .LBB6_1273
; %bb.1263:                             ;   in Loop: Header=BB6_1206 Depth=2
	s_mov_b32 s14, 0
	s_mov_b32 s37, 0
                                        ; implicit-def: $sgpr35
                                        ; implicit-def: $sgpr36
	s_branch .LBB6_1265
.LBB6_1264:                             ;   in Loop: Header=BB6_1265 Depth=3
	s_or_b32 exec_lo, exec_lo, s39
	s_delay_alu instid0(SALU_CYCLE_1) | instskip(NEXT) | instid1(SALU_CYCLE_1)
	s_and_b32 vcc_lo, exec_lo, vcc_lo
	s_or_b32 s14, vcc_lo, s14
	s_and_not1_b32 vcc_lo, s35, exec_lo
	s_and_b32 s35, s36, exec_lo
	s_delay_alu instid0(SALU_CYCLE_1)
	s_or_b32 s35, vcc_lo, s35
	s_and_not1_b32 exec_lo, exec_lo, s14
	s_cbranch_execz .LBB6_1271
.LBB6_1265:                             ;   Parent Loop BB6_55 Depth=1
                                        ;     Parent Loop BB6_1206 Depth=2
                                        ; =>    This Inner Loop Header: Depth=3
	s_add_i32 s37, s37, 1
                                        ; implicit-def: $sgpr39
	s_delay_alu instid0(SALU_CYCLE_1) | instskip(SKIP_1) | instid1(SALU_CYCLE_1)
	s_cmpk_lg_i32 s37, 0x2710
	s_cselect_b32 s38, -1, 0
	s_and_b32 vcc_lo, exec_lo, s38
	s_cbranch_vccz .LBB6_1269
.LBB6_1266:                             ;   in Loop: Header=BB6_1265 Depth=3
	s_and_not1_b32 s36, s36, exec_lo
	s_and_b32 s39, s39, exec_lo
	s_mov_b32 vcc_lo, -1
	s_or_b32 s36, s36, s39
	s_and_saveexec_b32 s39, s38
	s_cbranch_execz .LBB6_1264
; %bb.1267:                             ;   in Loop: Header=BB6_1265 Depth=3
	s_sleep 1
	s_cbranch_execnz .LBB6_1876
; %bb.1268:                             ;   in Loop: Header=BB6_1265 Depth=3
	ds_load_b64 v[13:14], v0
	s_and_not1_b32 s36, s36, exec_lo
	s_waitcnt lgkmcnt(0)
	v_cmp_ge_u64_e32 vcc_lo, v[13:14], v[80:81]
	s_or_not1_b32 vcc_lo, vcc_lo, exec_lo
	s_branch .LBB6_1264
.LBB6_1269:                             ;   in Loop: Header=BB6_1265 Depth=3
	s_cbranch_execnz .LBB6_1888
; %bb.1270:                             ;   in Loop: Header=BB6_1265 Depth=3
	ds_load_b64 v[13:14], v0
	s_and_not1_b32 s38, s38, exec_lo
	s_mov_b32 s37, 0
	s_mov_b32 s39, -1
	s_waitcnt lgkmcnt(0)
	flat_load_b32 v2, v[13:14] glc
	s_waitcnt vmcnt(0) lgkmcnt(0)
	buffer_gl1_inv
	buffer_gl0_inv
	v_cmp_eq_u32_e32 vcc_lo, 0, v2
	s_and_b32 vcc_lo, vcc_lo, exec_lo
	s_delay_alu instid0(SALU_CYCLE_1)
	s_or_b32 s38, s38, vcc_lo
	s_branch .LBB6_1266
.LBB6_1271:                             ;   in Loop: Header=BB6_1206 Depth=2
	s_or_b32 exec_lo, exec_lo, s14
	s_and_saveexec_b32 s14, s35
	s_delay_alu instid0(SALU_CYCLE_1)
	s_xor_b32 s14, exec_lo, s14
	s_cbranch_execz .LBB6_1273
; %bb.1272:                             ;   in Loop: Header=BB6_1206 Depth=2
	ds_store_b32 v0, v41
	s_cbranch_execnz .LBB6_1974
.LBB6_1273:                             ;   in Loop: Header=BB6_1206 Depth=2
	s_or_b32 exec_lo, exec_lo, s13
	;;#ASMSTART
	s_wakeup
	;;#ASMEND
.LBB6_1274:                             ;   in Loop: Header=BB6_1206 Depth=2
	s_or_b32 exec_lo, exec_lo, s11
.LBB6_1275:                             ;   in Loop: Header=BB6_1206 Depth=2
	s_and_not1_saveexec_b32 s4, s4
	s_cbranch_execz .LBB6_1277
; %bb.1276:                             ;   in Loop: Header=BB6_1206 Depth=2
	s_waitcnt lgkmcnt(0)
	s_waitcnt_vscnt null, 0x0
	buffer_gl1_inv
	buffer_gl0_inv
	s_barrier
.LBB6_1277:                             ;   in Loop: Header=BB6_1206 Depth=2
	s_or_b32 exec_lo, exec_lo, s4
.LBB6_1278:                             ;   in Loop: Header=BB6_1206 Depth=2
	s_delay_alu instid0(SALU_CYCLE_1)
	s_or_b32 exec_lo, exec_lo, s2
	s_cbranch_execnz .LBB6_1668
; %bb.1279:                             ;   in Loop: Header=BB6_1206 Depth=2
	ds_load_b64 v[13:14], v0
	v_sub_nc_u32_e32 v2, v16, v8
	v_mov_b32_e32 v9, 0
	s_delay_alu instid0(VALU_DEP_2) | instskip(SKIP_3) | instid1(SALU_CYCLE_1)
	v_min_i32_e32 v17, v17, v2
	s_waitcnt lgkmcnt(0)
	v_cmp_eq_u64_e32 vcc_lo, 0, v[13:14]
	s_or_b32 s2, vcc_lo, vcc_lo
	s_and_b32 vcc_lo, exec_lo, s2
	s_cbranch_vccnz .LBB6_1314
; %bb.1280:                             ;   in Loop: Header=BB6_1206 Depth=2
	s_mov_b32 s2, -1
	s_and_saveexec_b32 s4, s6
	s_cbranch_execz .LBB6_1282
; %bb.1281:                             ;   in Loop: Header=BB6_1206 Depth=2
	ds_load_b32 v2, v0 offset:720
	s_waitcnt lgkmcnt(0)
	v_and_b32_e32 v2, 15, v2
	s_delay_alu instid0(VALU_DEP_1)
	v_cmp_eq_u32_e32 vcc_lo, 0, v2
	s_or_not1_b32 s2, vcc_lo, exec_lo
.LBB6_1282:                             ;   in Loop: Header=BB6_1206 Depth=2
	s_or_b32 exec_lo, exec_lo, s4
	s_and_saveexec_b32 s4, s5
	s_cbranch_execz .LBB6_1284
; %bb.1283:                             ;   in Loop: Header=BB6_1206 Depth=2
	ds_load_b32 v2, v0 offset:784
	s_waitcnt lgkmcnt(0)
	v_and_b32_e32 v2, 15, v2
	s_delay_alu instid0(VALU_DEP_1) | instskip(SKIP_3) | instid1(SALU_CYCLE_1)
	v_cmp_eq_u32_e32 vcc_lo, 0, v2
	s_and_b32 s11, s2, vcc_lo
	s_and_not1_b32 s2, s2, exec_lo
	s_and_b32 s11, s11, exec_lo
	s_or_b32 s2, s2, s11
.LBB6_1284:                             ;   in Loop: Header=BB6_1206 Depth=2
	s_or_b32 exec_lo, exec_lo, s4
	v_cmp_eq_u32_e32 vcc_lo, 0, v12
	s_xor_b32 s2, s2, -1
	s_mov_b32 s4, -1
	v_cndmask_b32_e64 v2, 0, 1, s2
	;;#ASMSTART
	;;#ASMEND
	v_dual_cndmask_b32 v9, 0, v17 :: v_dual_mov_b32 v18, 0
	s_delay_alu instid0(VALU_DEP_2) | instskip(NEXT) | instid1(VALU_DEP_2)
	v_cmp_ne_u32_e32 vcc_lo, 0, v2
	v_lshlrev_b32_e32 v2, 3, v9
	s_cbranch_vccz .LBB6_1286
; %bb.1285:                             ;   in Loop: Header=BB6_1206 Depth=2
	v_mov_b32_e32 v19, v0
	v_mov_b32_e32 v22, v148
	s_branch .LBB6_1301
.LBB6_1286:                             ;   in Loop: Header=BB6_1206 Depth=2
	s_delay_alu instid0(VALU_DEP_1) | instskip(SKIP_1) | instid1(VALU_DEP_1)
	v_ashrrev_i32_e32 v12, 31, v2
	s_mov_b32 s2, exec_lo
	v_lshrrev_b32_e32 v12, 20, v12
	s_delay_alu instid0(VALU_DEP_1) | instskip(NEXT) | instid1(VALU_DEP_1)
	v_add_nc_u32_e32 v12, v2, v12
	v_ashrrev_i32_e32 v18, 12, v12
	s_delay_alu instid0(VALU_DEP_1) | instskip(NEXT) | instid1(VALU_DEP_1)
	v_sub_nc_u32_e32 v20, v18, v148
	v_cmpx_lt_i32_e32 0, v20
	s_cbranch_execz .LBB6_1291
; %bb.1287:                             ;   in Loop: Header=BB6_1206 Depth=2
	s_cbranch_execnz .LBB6_1844
; %bb.1288:                             ;   in Loop: Header=BB6_1206 Depth=2
	ds_load_b64 v[12:13], v0
	s_mov_b32 s4, 0
	s_waitcnt lgkmcnt(0)
	v_dual_mov_b32 v15, v13 :: v_dual_mov_b32 v14, v12
.LBB6_1289:                             ;   Parent Loop BB6_55 Depth=1
                                        ;     Parent Loop BB6_1206 Depth=2
                                        ; =>    This Inner Loop Header: Depth=3
	s_delay_alu instid0(VALU_DEP_1) | instskip(NEXT) | instid1(VALU_DEP_2)
	v_add_co_u32 v25, vcc_lo, v150, v14
	v_add_co_ci_u32_e32 v26, vcc_lo, v160, v15, vcc_lo
	v_sub_nc_u32_e32 v20, v20, v147
	s_clause 0x7
	global_load_b128 v[21:24], v[25:26], off slc dlc
	global_load_b128 v[32:35], v[25:26], off offset:512 slc dlc
	global_load_b128 v[36:39], v[25:26], off offset:1024 slc dlc
	;; [unrolled: 1-line block ×7, first 2 shown]
	v_add_co_u32 v25, vcc_lo, v150, v12
	v_add_co_ci_u32_e32 v26, vcc_lo, v160, v13, vcc_lo
	v_add_co_u32 v14, vcc_lo, v14, v162
	v_add_co_ci_u32_e32 v15, vcc_lo, v15, v163, vcc_lo
	;; [unrolled: 2-line block ×3, first 2 shown]
	v_cmp_gt_i32_e32 vcc_lo, 1, v20
	s_waitcnt vmcnt(7)
	global_store_b128 v[25:26], v[21:24], off glc slc dlc
	s_waitcnt vmcnt(6)
	global_store_b128 v[25:26], v[32:35], off offset:512 glc slc dlc
	s_waitcnt vmcnt(5)
	global_store_b128 v[25:26], v[36:39], off offset:1024 glc slc dlc
	;; [unrolled: 2-line block ×7, first 2 shown]
	s_or_b32 s4, vcc_lo, s4
	s_delay_alu instid0(SALU_CYCLE_1)
	s_and_not1_b32 exec_lo, exec_lo, s4
	s_cbranch_execnz .LBB6_1289
; %bb.1290:                             ;   in Loop: Header=BB6_1206 Depth=2
	s_or_b32 exec_lo, exec_lo, s4
.LBB6_1291:                             ;   in Loop: Header=BB6_1206 Depth=2
	s_delay_alu instid0(SALU_CYCLE_1) | instskip(SKIP_4) | instid1(VALU_DEP_2)
	s_or_b32 exec_lo, exec_lo, s2
	v_lshlrev_b32_e32 v14, 12, v18
	v_mov_b32_e32 v18, 0
	s_mov_b32 s4, 0
	s_mov_b32 s2, exec_lo
                                        ; implicit-def: $vgpr19
                                        ; implicit-def: $vgpr22
	v_cmpx_ne_u32_e64 v2, v14
	s_cbranch_execz .LBB6_1300
; %bb.1292:                             ;   in Loop: Header=BB6_1206 Depth=2
	v_lshlrev_b32_e32 v12, 5, v20
	v_sub_nc_u32_e32 v18, v2, v14
	s_mov_b32 s4, exec_lo
	s_delay_alu instid0(VALU_DEP_2) | instskip(NEXT) | instid1(VALU_DEP_2)
	v_sub_nc_u32_e32 v12, v149, v12
	v_ashrrev_i32_e32 v15, 31, v18
	s_delay_alu instid0(VALU_DEP_2) | instskip(NEXT) | instid1(VALU_DEP_2)
	v_ashrrev_i32_e32 v13, 31, v12
	v_lshrrev_b32_e32 v15, 23, v15
	s_delay_alu instid0(VALU_DEP_2) | instskip(NEXT) | instid1(VALU_DEP_2)
	v_lshrrev_b32_e32 v13, 27, v13
	v_add_nc_u32_e32 v22, v18, v15
	s_delay_alu instid0(VALU_DEP_2) | instskip(NEXT) | instid1(VALU_DEP_2)
	v_add_nc_u32_e32 v13, v12, v13
	v_and_b32_e32 v15, 0xfffffe00, v22
	v_ashrrev_i32_e32 v22, 9, v22
	s_delay_alu instid0(VALU_DEP_3) | instskip(NEXT) | instid1(VALU_DEP_3)
	v_and_b32_e32 v19, 0xffffffe0, v13
	v_sub_nc_u32_e32 v21, v18, v15
	s_delay_alu instid0(VALU_DEP_2) | instskip(SKIP_1) | instid1(VALU_DEP_3)
	v_sub_nc_u32_e32 v20, v12, v19
	v_ashrrev_i32_e32 v12, 5, v13
	v_cmp_lt_i32_e32 vcc_lo, 15, v21
	s_delay_alu instid0(VALU_DEP_3) | instskip(NEXT) | instid1(VALU_DEP_1)
	v_lshlrev_b32_e32 v13, 4, v20
	v_lshl_add_u32 v19, v12, 9, v13
	v_add_co_ci_u32_e64 v13, s13, 0, v22, vcc_lo
	s_delay_alu instid0(VALU_DEP_2) | instskip(NEXT) | instid1(VALU_DEP_2)
	v_sub_nc_u32_e32 v18, v18, v19
	v_sub_nc_u32_e32 v23, v13, v12
	s_delay_alu instid0(VALU_DEP_2)
	v_cmpx_lt_i32_e32 15, v18
	s_cbranch_execz .LBB6_1297
; %bb.1293:                             ;   in Loop: Header=BB6_1206 Depth=2
	s_cbranch_execnz .LBB6_1900
; %bb.1294:                             ;   in Loop: Header=BB6_1206 Depth=2
	ds_load_b64 v[12:13], v0
	v_add_nc_u32_e32 v19, v19, v14
	s_mov_b32 s11, 0
	s_delay_alu instid0(VALU_DEP_1)
	v_ashrrev_i32_e32 v22, 31, v19
.LBB6_1295:                             ;   Parent Loop BB6_55 Depth=1
                                        ;     Parent Loop BB6_1206 Depth=2
                                        ; =>    This Inner Loop Header: Depth=3
	s_waitcnt lgkmcnt(0)
	v_add_co_u32 v32, s13, v12, v19
	s_delay_alu instid0(VALU_DEP_1)
	v_add_co_ci_u32_e64 v33, s13, v13, v22, s13
	v_sub_nc_u32_e32 v18, v18, v151
	v_add_co_u32 v19, s14, v19, v166
	global_load_b128 v[24:27], v[32:33], off slc dlc
	v_sub_nc_u32_e32 v23, v23, v147
	v_cmp_gt_i32_e64 s13, 16, v18
	v_add_co_ci_u32_e64 v22, s14, v22, v167, s14
	s_delay_alu instid0(VALU_DEP_2)
	s_or_b32 s11, s13, s11
	s_waitcnt vmcnt(0)
	global_store_b128 v[32:33], v[24:27], off glc slc dlc
	s_and_not1_b32 exec_lo, exec_lo, s11
	s_cbranch_execnz .LBB6_1295
; %bb.1296:                             ;   in Loop: Header=BB6_1206 Depth=2
	s_or_b32 exec_lo, exec_lo, s11
.LBB6_1297:                             ;   in Loop: Header=BB6_1206 Depth=2
	s_delay_alu instid0(SALU_CYCLE_1) | instskip(SKIP_4) | instid1(VALU_DEP_2)
	s_or_b32 exec_lo, exec_lo, s4
	v_and_b32_e32 v12, 8, v2
	v_mov_b32_e32 v18, 0
	s_mov_b32 s4, 0
	s_mov_b32 s11, exec_lo
                                        ; implicit-def: $vgpr19
                                        ; implicit-def: $vgpr22
	v_cndmask_b32_e32 v2, v21, v12, vcc_lo
	s_delay_alu instid0(VALU_DEP_1)
	v_cmpx_ne_u32_e32 0, v2
; %bb.1298:                             ;   in Loop: Header=BB6_1206 Depth=2
	v_cmp_lt_i32_e64 s13, 0, v23
	v_sub_nc_u32_e32 v12, v21, v12
	s_mov_b32 s4, exec_lo
	s_delay_alu instid0(VALU_DEP_2) | instskip(NEXT) | instid1(VALU_DEP_1)
	v_cndmask_b32_e64 v13, 0, v147, s13
	v_sub_nc_u32_e32 v13, v13, v23
	s_delay_alu instid0(VALU_DEP_1) | instskip(NEXT) | instid1(VALU_DEP_1)
	v_lshl_add_u32 v19, v13, 5, v20
	v_ashrrev_i32_e32 v13, 31, v19
	s_delay_alu instid0(VALU_DEP_1) | instskip(NEXT) | instid1(VALU_DEP_1)
	v_lshrrev_b32_e32 v13, 27, v13
	v_dual_cndmask_b32 v12, 0, v12 :: v_dual_add_nc_u32 v13, v19, v13
	s_delay_alu instid0(VALU_DEP_1) | instskip(NEXT) | instid1(VALU_DEP_2)
	v_add3_u32 v18, v15, v14, v12
	v_ashrrev_i32_e32 v22, 5, v13
; %bb.1299:                             ;   in Loop: Header=BB6_1206 Depth=2
	s_or_b32 exec_lo, exec_lo, s11
	s_delay_alu instid0(SALU_CYCLE_1)
	s_and_b32 s4, s4, exec_lo
.LBB6_1300:                             ;   in Loop: Header=BB6_1206 Depth=2
	s_or_b32 exec_lo, exec_lo, s2
.LBB6_1301:                             ;   in Loop: Header=BB6_1206 Depth=2
	s_and_saveexec_b32 s2, s4
	s_cbranch_execz .LBB6_1313
; %bb.1302:                             ;   in Loop: Header=BB6_1206 Depth=2
	v_ashrrev_i32_e32 v12, 31, v2
	s_mov_b32 s4, exec_lo
	s_delay_alu instid0(VALU_DEP_1) | instskip(NEXT) | instid1(VALU_DEP_1)
	v_lshrrev_b32_e32 v12, 22, v12
	v_add_nc_u32_e32 v12, v2, v12
	s_delay_alu instid0(VALU_DEP_1) | instskip(NEXT) | instid1(VALU_DEP_1)
	v_ashrrev_i32_e32 v21, 10, v12
	v_sub_nc_u32_e32 v20, v21, v22
	s_delay_alu instid0(VALU_DEP_1)
	v_cmpx_lt_i32_e32 0, v20
	s_cbranch_execz .LBB6_1307
; %bb.1303:                             ;   in Loop: Header=BB6_1206 Depth=2
	s_cbranch_execnz .LBB6_1838
; %bb.1304:                             ;   in Loop: Header=BB6_1206 Depth=2
	v_ashrrev_i32_e32 v12, 31, v19
	s_mov_b32 s11, 0
	s_delay_alu instid0(VALU_DEP_1) | instskip(NEXT) | instid1(VALU_DEP_1)
	v_lshrrev_b32_e32 v12, 27, v12
	v_add_nc_u32_e32 v12, v19, v12
	s_delay_alu instid0(VALU_DEP_1) | instskip(SKIP_3) | instid1(VALU_DEP_1)
	v_and_b32_e32 v14, 0x1fffffe0, v12
	ds_load_b64 v[12:13], v0
	v_lshlrev_b32_e32 v15, 10, v22
	v_sub_nc_u32_e32 v14, v19, v14
	v_lshlrev_b32_e32 v14, 3, v14
	s_delay_alu instid0(VALU_DEP_1) | instskip(NEXT) | instid1(VALU_DEP_1)
	v_add3_u32 v22, v14, v18, v15
	v_ashrrev_i32_e32 v23, 31, v22
	s_waitcnt lgkmcnt(0)
	v_dual_mov_b32 v15, v13 :: v_dual_mov_b32 v14, v12
	s_set_inst_prefetch_distance 0x1
.LBB6_1305:                             ;   Parent Loop BB6_55 Depth=1
                                        ;     Parent Loop BB6_1206 Depth=2
                                        ; =>    This Inner Loop Header: Depth=3
	s_delay_alu instid0(VALU_DEP_1) | instskip(NEXT) | instid1(VALU_DEP_2)
	v_add_co_u32 v24, vcc_lo, v22, v14
	v_add_co_ci_u32_e32 v25, vcc_lo, v23, v15, vcc_lo
	v_add_co_u32 v36, vcc_lo, v22, v12
	v_sub_nc_u32_e32 v20, v20, v147
	s_clause 0x3
	flat_load_b64 v[26:27], v[24:25] slc dlc
	flat_load_b64 v[32:33], v[24:25] offset:256 slc dlc
	flat_load_b64 v[34:35], v[24:25] offset:512 slc dlc
	;; [unrolled: 1-line block ×3, first 2 shown]
	v_add_co_ci_u32_e32 v37, vcc_lo, v23, v13, vcc_lo
	v_add_co_u32 v14, vcc_lo, v14, v177
	v_add_co_ci_u32_e32 v15, vcc_lo, v15, v178, vcc_lo
	v_add_co_u32 v12, vcc_lo, v12, v177
	v_cmp_gt_i32_e64 s13, 1, v20
	v_add_co_ci_u32_e32 v13, vcc_lo, v13, v178, vcc_lo
	s_waitcnt vmcnt(3) lgkmcnt(3)
	flat_store_b64 v[36:37], v[26:27] glc slc dlc
	s_waitcnt vmcnt(2) lgkmcnt(3)
	flat_store_b64 v[36:37], v[32:33] offset:256 glc slc dlc
	s_waitcnt vmcnt(1) lgkmcnt(3)
	flat_store_b64 v[36:37], v[34:35] offset:512 glc slc dlc
	;; [unrolled: 2-line block ×3, first 2 shown]
	s_or_b32 s11, s13, s11
	s_delay_alu instid0(SALU_CYCLE_1)
	s_and_not1_b32 exec_lo, exec_lo, s11
	s_cbranch_execnz .LBB6_1305
; %bb.1306:                             ;   in Loop: Header=BB6_1206 Depth=2
	s_set_inst_prefetch_distance 0x2
	s_or_b32 exec_lo, exec_lo, s11
.LBB6_1307:                             ;   in Loop: Header=BB6_1206 Depth=2
	s_delay_alu instid0(SALU_CYCLE_1) | instskip(SKIP_2) | instid1(VALU_DEP_1)
	s_or_b32 exec_lo, exec_lo, s4
	v_lshlrev_b32_e32 v12, 10, v21
	s_mov_b32 s4, exec_lo
	v_cmpx_ne_u32_e64 v2, v12
	s_cbranch_execz .LBB6_1312
; %bb.1308:                             ;   in Loop: Header=BB6_1206 Depth=2
	v_ashrrev_i32_e32 v13, 31, v19
	v_lshlrev_b32_e32 v14, 5, v20
	s_delay_alu instid0(VALU_DEP_2) | instskip(NEXT) | instid1(VALU_DEP_1)
	v_lshrrev_b32_e32 v13, 27, v13
	v_add_nc_u32_e32 v13, v19, v13
	s_delay_alu instid0(VALU_DEP_1) | instskip(NEXT) | instid1(VALU_DEP_1)
	v_and_b32_e32 v13, 0xffffffe0, v13
	v_sub_nc_u32_e32 v13, v19, v13
	s_delay_alu instid0(VALU_DEP_1) | instskip(NEXT) | instid1(VALU_DEP_1)
	v_sub_nc_u32_e32 v13, v13, v14
	v_ashrrev_i32_e32 v14, 31, v13
	s_delay_alu instid0(VALU_DEP_1) | instskip(NEXT) | instid1(VALU_DEP_1)
	v_lshrrev_b32_e32 v14, 27, v14
	v_add_nc_u32_e32 v14, v13, v14
	s_delay_alu instid0(VALU_DEP_1) | instskip(SKIP_1) | instid1(VALU_DEP_2)
	v_and_b32_e32 v15, 0x1fffffe0, v14
	v_lshlrev_b32_e32 v14, 3, v14
	v_sub_nc_u32_e32 v13, v13, v15
	s_delay_alu instid0(VALU_DEP_2) | instskip(NEXT) | instid1(VALU_DEP_2)
	v_and_b32_e32 v14, 0xffffff00, v14
	v_lshlrev_b32_e32 v13, 3, v13
	s_delay_alu instid0(VALU_DEP_1) | instskip(NEXT) | instid1(VALU_DEP_1)
	v_add3_u32 v14, v14, v13, v12
	v_sub_nc_u32_e32 v2, v2, v14
	s_delay_alu instid0(VALU_DEP_1)
	v_cmp_lt_i32_e32 vcc_lo, 7, v2
	s_and_b32 exec_lo, exec_lo, vcc_lo
	s_cbranch_execz .LBB6_1312
; %bb.1309:                             ;   in Loop: Header=BB6_1206 Depth=2
	s_cbranch_execnz .LBB6_1894
; %bb.1310:                             ;   in Loop: Header=BB6_1206 Depth=2
	ds_load_b64 v[12:13], v0
	v_add_nc_u32_e32 v14, v14, v18
	s_mov_b32 s11, 0
	s_delay_alu instid0(VALU_DEP_1)
	v_ashrrev_i32_e32 v15, 31, v14
.LBB6_1311:                             ;   Parent Loop BB6_55 Depth=1
                                        ;     Parent Loop BB6_1206 Depth=2
                                        ; =>    This Inner Loop Header: Depth=3
	s_waitcnt lgkmcnt(0)
	v_add_co_u32 v18, vcc_lo, v12, v14
	s_delay_alu instid0(VALU_DEP_2)
	v_add_co_ci_u32_e32 v19, vcc_lo, v13, v15, vcc_lo
	v_sub_nc_u32_e32 v2, v2, v165
	v_add_co_u32 v14, s13, v14, v180
	flat_load_b64 v[20:21], v[18:19] slc dlc
	v_add_co_ci_u32_e64 v15, s13, v15, v181, s13
	v_cmp_gt_i32_e32 vcc_lo, 8, v2
	s_or_b32 s11, vcc_lo, s11
	s_waitcnt vmcnt(0) lgkmcnt(0)
	flat_store_b64 v[18:19], v[20:21] glc slc dlc
	s_and_not1_b32 exec_lo, exec_lo, s11
	s_cbranch_execnz .LBB6_1311
.LBB6_1312:                             ;   in Loop: Header=BB6_1206 Depth=2
	s_or_b32 exec_lo, exec_lo, s4
.LBB6_1313:                             ;   in Loop: Header=BB6_1206 Depth=2
	s_delay_alu instid0(SALU_CYCLE_1)
	s_or_b32 exec_lo, exec_lo, s2
.LBB6_1314:                             ;   in Loop: Header=BB6_1206 Depth=2
	s_and_saveexec_b32 s2, s3
	s_cbranch_execz .LBB6_1336
; %bb.1315:                             ;   in Loop: Header=BB6_1206 Depth=2
	s_and_saveexec_b32 s4, s41
	s_delay_alu instid0(SALU_CYCLE_1)
	s_xor_b32 s4, exec_lo, s4
	s_cbranch_execz .LBB6_1333
; %bb.1316:                             ;   in Loop: Header=BB6_1206 Depth=2
	s_and_saveexec_b32 s11, s1
	s_cbranch_execz .LBB6_1332
; %bb.1317:                             ;   in Loop: Header=BB6_1206 Depth=2
	s_mov_b32 s14, exec_lo
	s_mov_b32 s13, exec_lo
	v_mbcnt_lo_u32_b32 v2, s14, 0
	s_waitcnt lgkmcnt(0)
	s_waitcnt_vscnt null, 0x0
	buffer_gl1_inv
	buffer_gl0_inv
	v_cmpx_eq_u32_e32 0, v2
	s_cbranch_execz .LBB6_1319
; %bb.1318:                             ;   in Loop: Header=BB6_1206 Depth=2
	s_bcnt1_i32_b32 s14, s14
	s_delay_alu instid0(SALU_CYCLE_1)
	v_mov_b32_e32 v2, s14
	ds_add_u64 v0, v[2:3]
	s_cbranch_execnz .LBB6_1880
.LBB6_1319:                             ;   in Loop: Header=BB6_1206 Depth=2
	s_or_b32 exec_lo, exec_lo, s13
	s_cbranch_execnz .LBB6_1856
; %bb.1320:                             ;   in Loop: Header=BB6_1206 Depth=2
	ds_load_b64 v[12:13], v0
	v_add_co_u32 v80, vcc_lo, v80, v147
	v_add_co_ci_u32_e32 v81, vcc_lo, 0, v81, vcc_lo
	s_mov_b32 s13, exec_lo
	s_waitcnt lgkmcnt(0)
	s_delay_alu instid0(VALU_DEP_1)
	v_cmpx_lt_u64_e64 v[12:13], v[80:81]
	s_cbranch_execz .LBB6_1331
; %bb.1321:                             ;   in Loop: Header=BB6_1206 Depth=2
	s_mov_b32 s14, 0
	s_mov_b32 s37, 0
                                        ; implicit-def: $sgpr35
                                        ; implicit-def: $sgpr36
	s_branch .LBB6_1323
.LBB6_1322:                             ;   in Loop: Header=BB6_1323 Depth=3
	s_or_b32 exec_lo, exec_lo, s39
	s_delay_alu instid0(SALU_CYCLE_1) | instskip(NEXT) | instid1(SALU_CYCLE_1)
	s_and_b32 vcc_lo, exec_lo, vcc_lo
	s_or_b32 s14, vcc_lo, s14
	s_and_not1_b32 vcc_lo, s35, exec_lo
	s_and_b32 s35, s36, exec_lo
	s_delay_alu instid0(SALU_CYCLE_1)
	s_or_b32 s35, vcc_lo, s35
	s_and_not1_b32 exec_lo, exec_lo, s14
	s_cbranch_execz .LBB6_1329
.LBB6_1323:                             ;   Parent Loop BB6_55 Depth=1
                                        ;     Parent Loop BB6_1206 Depth=2
                                        ; =>    This Inner Loop Header: Depth=3
	s_add_i32 s37, s37, 1
                                        ; implicit-def: $sgpr39
	s_delay_alu instid0(SALU_CYCLE_1) | instskip(SKIP_1) | instid1(SALU_CYCLE_1)
	s_cmpk_lg_i32 s37, 0x2710
	s_cselect_b32 s38, -1, 0
	s_and_b32 vcc_lo, exec_lo, s38
	s_cbranch_vccz .LBB6_1327
.LBB6_1324:                             ;   in Loop: Header=BB6_1323 Depth=3
	s_and_not1_b32 s36, s36, exec_lo
	s_and_b32 s39, s39, exec_lo
	s_mov_b32 vcc_lo, -1
	s_or_b32 s36, s36, s39
	s_and_saveexec_b32 s39, s38
	s_cbranch_execz .LBB6_1322
; %bb.1325:                             ;   in Loop: Header=BB6_1323 Depth=3
	s_sleep 1
	s_cbranch_execnz .LBB6_1914
; %bb.1326:                             ;   in Loop: Header=BB6_1323 Depth=3
	ds_load_b64 v[12:13], v0
	s_and_not1_b32 s36, s36, exec_lo
	s_waitcnt lgkmcnt(0)
	v_cmp_ge_u64_e32 vcc_lo, v[12:13], v[80:81]
	s_or_not1_b32 vcc_lo, vcc_lo, exec_lo
	s_branch .LBB6_1322
.LBB6_1327:                             ;   in Loop: Header=BB6_1323 Depth=3
	s_cbranch_execnz .LBB6_1924
; %bb.1328:                             ;   in Loop: Header=BB6_1323 Depth=3
	ds_load_b64 v[12:13], v0
	s_and_not1_b32 s38, s38, exec_lo
	s_mov_b32 s37, 0
	s_mov_b32 s39, -1
	s_waitcnt lgkmcnt(0)
	flat_load_b32 v2, v[12:13] glc
	s_waitcnt vmcnt(0) lgkmcnt(0)
	buffer_gl1_inv
	buffer_gl0_inv
	v_cmp_eq_u32_e32 vcc_lo, 0, v2
	s_and_b32 vcc_lo, vcc_lo, exec_lo
	s_delay_alu instid0(SALU_CYCLE_1)
	s_or_b32 s38, s38, vcc_lo
	s_branch .LBB6_1324
.LBB6_1329:                             ;   in Loop: Header=BB6_1206 Depth=2
	s_or_b32 exec_lo, exec_lo, s14
	s_and_saveexec_b32 s14, s35
	s_delay_alu instid0(SALU_CYCLE_1)
	s_xor_b32 s14, exec_lo, s14
	s_cbranch_execz .LBB6_1331
; %bb.1330:                             ;   in Loop: Header=BB6_1206 Depth=2
	ds_store_b32 v0, v41
	s_cbranch_execnz .LBB6_1978
.LBB6_1331:                             ;   in Loop: Header=BB6_1206 Depth=2
	s_or_b32 exec_lo, exec_lo, s13
	;;#ASMSTART
	s_wakeup
	;;#ASMEND
.LBB6_1332:                             ;   in Loop: Header=BB6_1206 Depth=2
	s_or_b32 exec_lo, exec_lo, s11
.LBB6_1333:                             ;   in Loop: Header=BB6_1206 Depth=2
	s_and_not1_saveexec_b32 s4, s4
	s_cbranch_execz .LBB6_1335
; %bb.1334:                             ;   in Loop: Header=BB6_1206 Depth=2
	s_waitcnt lgkmcnt(0)
	s_waitcnt_vscnt null, 0x0
	buffer_gl1_inv
	buffer_gl0_inv
	s_barrier
.LBB6_1335:                             ;   in Loop: Header=BB6_1206 Depth=2
	s_or_b32 exec_lo, exec_lo, s4
.LBB6_1336:                             ;   in Loop: Header=BB6_1206 Depth=2
	s_delay_alu instid0(SALU_CYCLE_1) | instskip(SKIP_1) | instid1(SALU_CYCLE_1)
	s_or_b32 exec_lo, exec_lo, s2
	s_and_saveexec_b32 s2, s7
	s_xor_b32 s2, exec_lo, s2
	s_cbranch_execz .LBB6_1340
; %bb.1337:                             ;   in Loop: Header=BB6_1206 Depth=2
	v_and_b32_e32 v2, 16, v30
	v_cmp_lt_i32_e32 vcc_lo, 0, v9
	s_delay_alu instid0(VALU_DEP_2) | instskip(NEXT) | instid1(VALU_DEP_1)
	v_cmp_ne_u32_e64 s13, 0, v2
	s_and_b32 s11, s13, vcc_lo
	s_delay_alu instid0(SALU_CYCLE_1)
	s_and_saveexec_b32 s4, s11
	s_cbranch_execz .LBB6_1339
; %bb.1338:                             ;   in Loop: Header=BB6_1206 Depth=2
	s_waitcnt lgkmcnt(0)
	s_waitcnt_vscnt null, 0x0
	buffer_gl1_inv
	buffer_gl0_inv
.LBB6_1339:                             ;   in Loop: Header=BB6_1206 Depth=2
	s_or_b32 exec_lo, exec_lo, s4
.LBB6_1340:                             ;   in Loop: Header=BB6_1206 Depth=2
	s_and_not1_saveexec_b32 s2, s2
	s_cbranch_execz .LBB6_1362
; %bb.1341:                             ;   in Loop: Header=BB6_1206 Depth=2
	s_and_saveexec_b32 s4, s41
	s_delay_alu instid0(SALU_CYCLE_1)
	s_xor_b32 s4, exec_lo, s4
	s_cbranch_execz .LBB6_1359
; %bb.1342:                             ;   in Loop: Header=BB6_1206 Depth=2
	s_and_saveexec_b32 s11, s1
	s_cbranch_execz .LBB6_1358
; %bb.1343:                             ;   in Loop: Header=BB6_1206 Depth=2
	s_mov_b32 s14, exec_lo
	s_mov_b32 s13, exec_lo
	v_mbcnt_lo_u32_b32 v2, s14, 0
	;;#ASMSTART
	s_waitcnt lgkmcnt(0) vmcnt(0)
	;;#ASMEND
	s_delay_alu instid0(VALU_DEP_1)
	v_cmpx_eq_u32_e32 0, v2
	s_cbranch_execz .LBB6_1345
; %bb.1344:                             ;   in Loop: Header=BB6_1206 Depth=2
	s_bcnt1_i32_b32 s14, s14
	s_delay_alu instid0(SALU_CYCLE_1)
	v_mov_b32_e32 v2, s14
	ds_add_u64 v0, v[2:3]
	s_cbranch_execnz .LBB6_1886
.LBB6_1345:                             ;   in Loop: Header=BB6_1206 Depth=2
	s_or_b32 exec_lo, exec_lo, s13
	s_cbranch_execnz .LBB6_1866
; %bb.1346:                             ;   in Loop: Header=BB6_1206 Depth=2
	ds_load_b64 v[12:13], v0
	v_add_co_u32 v80, vcc_lo, v80, v147
	v_add_co_ci_u32_e32 v81, vcc_lo, 0, v81, vcc_lo
	s_mov_b32 s13, exec_lo
	s_waitcnt lgkmcnt(0)
	s_delay_alu instid0(VALU_DEP_1)
	v_cmpx_lt_u64_e64 v[12:13], v[80:81]
	s_cbranch_execz .LBB6_1357
; %bb.1347:                             ;   in Loop: Header=BB6_1206 Depth=2
	s_mov_b32 s14, 0
	s_mov_b32 s37, 0
                                        ; implicit-def: $sgpr35
                                        ; implicit-def: $sgpr36
	s_branch .LBB6_1349
.LBB6_1348:                             ;   in Loop: Header=BB6_1349 Depth=3
	s_or_b32 exec_lo, exec_lo, s39
	s_delay_alu instid0(SALU_CYCLE_1) | instskip(NEXT) | instid1(SALU_CYCLE_1)
	s_and_b32 vcc_lo, exec_lo, vcc_lo
	s_or_b32 s14, vcc_lo, s14
	s_and_not1_b32 vcc_lo, s35, exec_lo
	s_and_b32 s35, s36, exec_lo
	s_delay_alu instid0(SALU_CYCLE_1)
	s_or_b32 s35, vcc_lo, s35
	s_and_not1_b32 exec_lo, exec_lo, s14
	s_cbranch_execz .LBB6_1355
.LBB6_1349:                             ;   Parent Loop BB6_55 Depth=1
                                        ;     Parent Loop BB6_1206 Depth=2
                                        ; =>    This Inner Loop Header: Depth=3
	s_add_i32 s37, s37, 1
                                        ; implicit-def: $sgpr39
	s_delay_alu instid0(SALU_CYCLE_1) | instskip(SKIP_1) | instid1(SALU_CYCLE_1)
	s_cmpk_lg_i32 s37, 0x2710
	s_cselect_b32 s38, -1, 0
	s_and_b32 vcc_lo, exec_lo, s38
	s_cbranch_vccnz .LBB6_1352
; %bb.1350:                             ;   in Loop: Header=BB6_1349 Depth=3
	s_cbranch_execnz .LBB6_1932
; %bb.1351:                             ;   in Loop: Header=BB6_1349 Depth=3
	ds_load_b64 v[12:13], v0
	s_and_not1_b32 s38, s38, exec_lo
	s_mov_b32 s37, 0
	s_mov_b32 s39, -1
	s_waitcnt lgkmcnt(0)
	s_waitcnt_vscnt null, 0x0
	flat_load_b32 v2, v[12:13] glc
	s_waitcnt vmcnt(0) lgkmcnt(0)
	buffer_gl1_inv
	buffer_gl0_inv
	v_cmp_eq_u32_e32 vcc_lo, 0, v2
	s_and_b32 vcc_lo, vcc_lo, exec_lo
	s_delay_alu instid0(SALU_CYCLE_1)
	s_or_b32 s38, s38, vcc_lo
.LBB6_1352:                             ;   in Loop: Header=BB6_1349 Depth=3
	s_and_not1_b32 s36, s36, exec_lo
	s_and_b32 s39, s39, exec_lo
	s_mov_b32 vcc_lo, -1
	s_or_b32 s36, s36, s39
	s_and_saveexec_b32 s39, s38
	s_cbranch_execz .LBB6_1348
; %bb.1353:                             ;   in Loop: Header=BB6_1349 Depth=3
	s_sleep 1
	s_cbranch_execnz .LBB6_1918
; %bb.1354:                             ;   in Loop: Header=BB6_1349 Depth=3
	ds_load_b64 v[12:13], v0
	s_and_not1_b32 s36, s36, exec_lo
	s_waitcnt lgkmcnt(0)
	v_cmp_ge_u64_e32 vcc_lo, v[12:13], v[80:81]
	s_or_not1_b32 vcc_lo, vcc_lo, exec_lo
	s_branch .LBB6_1348
.LBB6_1355:                             ;   in Loop: Header=BB6_1206 Depth=2
	s_or_b32 exec_lo, exec_lo, s14
	s_and_saveexec_b32 s14, s35
	s_delay_alu instid0(SALU_CYCLE_1)
	s_xor_b32 s14, exec_lo, s14
	s_cbranch_execz .LBB6_1357
; %bb.1356:                             ;   in Loop: Header=BB6_1206 Depth=2
	ds_store_b32 v0, v41
	s_cbranch_execnz .LBB6_1980
.LBB6_1357:                             ;   in Loop: Header=BB6_1206 Depth=2
	s_or_b32 exec_lo, exec_lo, s13
	;;#ASMSTART
	s_wakeup
	;;#ASMEND
.LBB6_1358:                             ;   in Loop: Header=BB6_1206 Depth=2
	s_or_b32 exec_lo, exec_lo, s11
.LBB6_1359:                             ;   in Loop: Header=BB6_1206 Depth=2
	s_and_not1_saveexec_b32 s4, s4
	s_cbranch_execz .LBB6_1361
; %bb.1360:                             ;   in Loop: Header=BB6_1206 Depth=2
	;;#ASMSTART
	s_waitcnt lgkmcnt(0) vmcnt(0)
	;;#ASMEND
	s_waitcnt lgkmcnt(0)
	s_waitcnt_vscnt null, 0x0
	s_barrier
.LBB6_1361:                             ;   in Loop: Header=BB6_1206 Depth=2
	s_or_b32 exec_lo, exec_lo, s4
.LBB6_1362:                             ;   in Loop: Header=BB6_1206 Depth=2
	s_delay_alu instid0(SALU_CYCLE_1) | instskip(SKIP_2) | instid1(VALU_DEP_1)
	s_or_b32 exec_lo, exec_lo, s2
	v_and_b32_e32 v2, 32, v30
	s_mov_b32 s2, exec_lo
	v_cmpx_ne_u32_e32 0, v2
	s_cbranch_execz .LBB6_1364
; %bb.1363:                             ;   in Loop: Header=BB6_1206 Depth=2
	v_add_co_u32 v66, vcc_lo, v66, 2
	v_add_co_ci_u32_e32 v67, vcc_lo, 0, v67, vcc_lo
	s_waitcnt lgkmcnt(0)
	s_waitcnt_vscnt null, 0x0
	flat_store_b64 v[64:65], v[66:67]
.LBB6_1364:                             ;   in Loop: Header=BB6_1206 Depth=2
	s_or_b32 exec_lo, exec_lo, s2
	v_add_nc_u32_e32 v8, v17, v8
	s_xor_b32 s2, s31, -1
	v_mov_b32_e32 v2, s34
	s_mov_b32 s31, 0
	s_mov_b32 s34, 2
	v_cmp_ge_i32_e32 vcc_lo, v8, v16
	s_or_b32 s2, s2, vcc_lo
	s_delay_alu instid0(SALU_CYCLE_1) | instskip(NEXT) | instid1(SALU_CYCLE_1)
	s_and_b32 s2, exec_lo, s2
	s_or_b32 s30, s2, s30
	s_delay_alu instid0(SALU_CYCLE_1)
	s_and_not1_b32 exec_lo, exec_lo, s30
	s_cbranch_execnz .LBB6_1206
; %bb.1365:                             ;   in Loop: Header=BB6_55 Depth=1
	s_or_b32 exec_lo, exec_lo, s30
.LBB6_1366:                             ;   in Loop: Header=BB6_55 Depth=1
	s_delay_alu instid0(SALU_CYCLE_1) | instskip(NEXT) | instid1(SALU_CYCLE_1)
	s_or_b32 exec_lo, exec_lo, s15
	s_mov_b32 s11, exec_lo
	v_cmpx_gt_i32_e32 2, v2
	s_cbranch_execz .LBB6_1445
; %bb.1367:                             ;   in Loop: Header=BB6_55 Depth=1
	v_cmp_eq_u32_e64 s2, 0, v2
	s_mov_b32 s14, 0
.LBB6_1368:                             ;   Parent Loop BB6_55 Depth=1
                                        ; =>  This Loop Header: Depth=2
                                        ;       Child Loop BB6_1374 Depth 3
                                        ;       Child Loop BB6_1401 Depth 3
	;; [unrolled: 1-line block ×3, first 2 shown]
	v_and_b32_e32 v2, 4, v30
	s_mov_b32 s13, -1
	s_mov_b32 s4, exec_lo
	s_delay_alu instid0(VALU_DEP_1)
	v_cmpx_ne_u32_e32 0, v2
	s_cbranch_execz .LBB6_1382
; %bb.1369:                             ;   in Loop: Header=BB6_1368 Depth=2
	v_add_co_u32 v9, vcc_lo, v66, 2
	v_add_co_ci_u32_e32 v10, vcc_lo, 0, v67, vcc_lo
	v_mov_b32_e32 v2, 1
	s_mov_b32 s13, exec_lo
	s_delay_alu instid0(VALU_DEP_2)
	v_cmpx_lt_u64_e64 v[82:83], v[9:10]
	s_cbranch_execz .LBB6_1381
; %bb.1370:                             ;   in Loop: Header=BB6_1368 Depth=2
	v_mov_b32_e32 v2, 0
	s_mov_b32 s15, 0
                                        ; implicit-def: $sgpr30
	s_branch .LBB6_1374
.LBB6_1371:                             ;   in Loop: Header=BB6_1374 Depth=3
	s_or_b32 exec_lo, exec_lo, s36
	v_mov_b32_e32 v11, 0
	s_or_not1_b32 s35, s35, exec_lo
.LBB6_1372:                             ;   in Loop: Header=BB6_1374 Depth=3
	s_or_b32 exec_lo, exec_lo, s34
	s_delay_alu instid0(VALU_DEP_1) | instskip(SKIP_2) | instid1(SALU_CYCLE_1)
	v_mov_b32_e32 v2, v11
	s_and_not1_b32 vcc_lo, s30, exec_lo
	s_and_b32 s30, s35, exec_lo
	s_or_b32 s30, vcc_lo, s30
.LBB6_1373:                             ;   in Loop: Header=BB6_1374 Depth=3
	s_or_b32 exec_lo, exec_lo, s31
	s_waitcnt vmcnt(0) lgkmcnt(0)
	v_cmp_ge_u64_e32 vcc_lo, v[82:83], v[9:10]
	s_xor_b32 s31, s30, -1
	s_delay_alu instid0(SALU_CYCLE_1) | instskip(NEXT) | instid1(SALU_CYCLE_1)
	s_or_b32 vcc_lo, s31, vcc_lo
	s_and_b32 vcc_lo, exec_lo, vcc_lo
	s_delay_alu instid0(SALU_CYCLE_1) | instskip(NEXT) | instid1(SALU_CYCLE_1)
	s_or_b32 s15, vcc_lo, s15
	s_and_not1_b32 exec_lo, exec_lo, s15
	s_cbranch_execz .LBB6_1380
.LBB6_1374:                             ;   Parent Loop BB6_55 Depth=1
                                        ;     Parent Loop BB6_1368 Depth=2
                                        ; =>    This Inner Loop Header: Depth=3
	s_sleep 1
	flat_load_b64 v[82:83], v[64:65] glc
	v_and_b32_e32 v11, 64, v30
	s_and_not1_b32 s30, s30, exec_lo
	s_mov_b32 s31, exec_lo
	s_delay_alu instid0(VALU_DEP_1)
	v_cmpx_eq_u32_e32 0, v11
	s_cbranch_execz .LBB6_1373
; %bb.1375:                             ;   in Loop: Header=BB6_1374 Depth=3
	v_add_nc_u32_e32 v11, 1, v2
	s_mov_b32 s35, -1
	s_mov_b32 s34, exec_lo
	v_cmpx_lt_i32_e32 0x270e, v2
	s_cbranch_execz .LBB6_1372
; %bb.1376:                             ;   in Loop: Header=BB6_1374 Depth=3
	s_cbranch_execnz .LBB6_1652
; %bb.1377:                             ;   in Loop: Header=BB6_1374 Depth=3
	ds_load_b64 v[11:12], v0
	s_mov_b32 s36, exec_lo
	s_waitcnt vmcnt(0) lgkmcnt(0)
	s_waitcnt_vscnt null, 0x0
	flat_load_b32 v2, v[11:12] glc
	s_waitcnt vmcnt(0) lgkmcnt(0)
	buffer_gl1_inv
	buffer_gl0_inv
	v_cmpx_ne_u32_e32 0, v2
	s_cbranch_execz .LBB6_1371
; %bb.1378:                             ;   in Loop: Header=BB6_1374 Depth=3
	ds_store_b32 v0, v2
	s_cbranch_execnz .LBB6_1730
; %bb.1379:                             ;   in Loop: Header=BB6_1374 Depth=3
	v_or_b32_e32 v30, 64, v30
	s_xor_b32 s35, exec_lo, -1
	s_branch .LBB6_1371
.LBB6_1380:                             ;   in Loop: Header=BB6_1368 Depth=2
	s_or_b32 exec_lo, exec_lo, s15
	v_and_b32_e32 v2, 4, v30
.LBB6_1381:                             ;   in Loop: Header=BB6_1368 Depth=2
	s_or_b32 exec_lo, exec_lo, s13
	s_delay_alu instid0(VALU_DEP_1)
	v_cmp_eq_u32_e32 vcc_lo, 0, v2
	;;#ASMSTART
	s_wakeup
	;;#ASMEND
	s_or_not1_b32 s13, vcc_lo, exec_lo
.LBB6_1382:                             ;   in Loop: Header=BB6_1368 Depth=2
	s_or_b32 exec_lo, exec_lo, s4
	s_xor_b32 s2, s2, -1
	s_delay_alu instid0(SALU_CYCLE_1) | instskip(NEXT) | instid1(SALU_CYCLE_1)
	s_and_b32 s2, exec_lo, s2
	s_or_b32 s14, s2, s14
	s_xor_b32 s4, s13, -1
	s_delay_alu instid0(SALU_CYCLE_1)
	s_and_saveexec_b32 s2, s4
	s_cbranch_execz .LBB6_1392
; %bb.1383:                             ;   in Loop: Header=BB6_1368 Depth=2
	v_and_b32_e32 v2, 0x100, v30
	s_mov_b32 s13, -1
                                        ; implicit-def: $vgpr9_vgpr10
	s_delay_alu instid0(VALU_DEP_1)
	v_cmp_ne_u32_e32 vcc_lo, 0, v2
	v_and_b32_e32 v2, 7, v66
	s_and_saveexec_b32 s4, vcc_lo
	s_cbranch_execz .LBB6_1387
; %bb.1384:                             ;   in Loop: Header=BB6_1368 Depth=2
	s_delay_alu instid0(VALU_DEP_1) | instskip(SKIP_4) | instid1(VALU_DEP_1)
	v_mad_u64_u32 v[11:12], null, v2, 24, v[6:7]
	flat_load_b32 v9, v[11:12]
	s_waitcnt vmcnt(0) lgkmcnt(0)
	v_cmp_ne_u32_e32 vcc_lo, 1, v9
	v_cmp_eq_u32_e64 s13, 1, v9
                                        ; implicit-def: $vgpr9_vgpr10
	s_and_saveexec_b32 s15, s13
	s_cbranch_execz .LBB6_1386
; %bb.1385:                             ;   in Loop: Header=BB6_1368 Depth=2
	flat_load_b32 v9, v[11:12] offset:4 glc
	s_waitcnt vmcnt(0) lgkmcnt(0)
	v_ashrrev_i32_e32 v10, 31, v9
	s_delay_alu instid0(VALU_DEP_1)
	v_lshrrev_b64 v[9:10], 3, v[9:10]
.LBB6_1386:                             ;   in Loop: Header=BB6_1368 Depth=2
	s_or_b32 exec_lo, exec_lo, s15
	s_delay_alu instid0(SALU_CYCLE_1)
	s_or_not1_b32 s13, vcc_lo, exec_lo
.LBB6_1387:                             ;   in Loop: Header=BB6_1368 Depth=2
	s_or_b32 exec_lo, exec_lo, s4
	s_and_saveexec_b32 s4, s13
; %bb.1388:                             ;   in Loop: Header=BB6_1368 Depth=2
	v_mad_i64_i32 v[9:10], null, v2, v145, 0
; %bb.1389:                             ;   in Loop: Header=BB6_1368 Depth=2
	s_or_b32 exec_lo, exec_lo, s4
	s_delay_alu instid0(VALU_DEP_1) | instskip(SKIP_2) | instid1(VALU_DEP_2)
	v_lshlrev_b64 v[9:10], 3, v[9:10]
	v_and_b32_e32 v2, 0x2000, v30
	s_mov_b32 s4, exec_lo
	v_add_co_u32 v9, vcc_lo, v68, v9
	s_delay_alu instid0(VALU_DEP_3)
	v_add_co_ci_u32_e32 v10, vcc_lo, v69, v10, vcc_lo
	ds_store_b64 v0, v[9:10] offset:720
	v_cmpx_ne_u32_e32 0, v2
	s_cbranch_execz .LBB6_1391
; %bb.1390:                             ;   in Loop: Header=BB6_1368 Depth=2
	ds_load_b64 v[9:10], v0 offset:584
	s_waitcnt lgkmcnt(0)
	v_add_co_u32 v9, vcc_lo, v9, 1
	v_add_co_ci_u32_e32 v10, vcc_lo, 0, v10, vcc_lo
	ds_store_b64 v0, v[9:10] offset:584
.LBB6_1391:                             ;   in Loop: Header=BB6_1368 Depth=2
	s_or_b32 exec_lo, exec_lo, s4
	v_add_co_u32 v66, vcc_lo, v66, 2
	v_add_co_ci_u32_e32 v67, vcc_lo, 0, v67, vcc_lo
.LBB6_1392:                             ;   in Loop: Header=BB6_1368 Depth=2
	s_or_b32 exec_lo, exec_lo, s2
	s_and_saveexec_b32 s2, s3
	s_cbranch_execz .LBB6_1414
; %bb.1393:                             ;   in Loop: Header=BB6_1368 Depth=2
	s_and_saveexec_b32 s4, s41
	s_delay_alu instid0(SALU_CYCLE_1)
	s_xor_b32 s4, exec_lo, s4
	s_cbranch_execz .LBB6_1411
; %bb.1394:                             ;   in Loop: Header=BB6_1368 Depth=2
	s_and_saveexec_b32 s13, s1
	s_cbranch_execz .LBB6_1410
; %bb.1395:                             ;   in Loop: Header=BB6_1368 Depth=2
	s_mov_b32 s30, exec_lo
	s_mov_b32 s15, exec_lo
	v_mbcnt_lo_u32_b32 v2, s30, 0
	s_waitcnt lgkmcnt(0)
	s_waitcnt_vscnt null, 0x0
	buffer_gl1_inv
	buffer_gl0_inv
	v_cmpx_eq_u32_e32 0, v2
	s_cbranch_execz .LBB6_1397
; %bb.1396:                             ;   in Loop: Header=BB6_1368 Depth=2
	s_bcnt1_i32_b32 vcc_lo, s30
	s_delay_alu instid0(SALU_CYCLE_1)
	v_mov_b32_e32 v2, vcc_lo
	ds_add_u64 v0, v[2:3]
	s_cbranch_execnz .LBB6_1764
.LBB6_1397:                             ;   in Loop: Header=BB6_1368 Depth=2
	s_or_b32 exec_lo, exec_lo, s15
	s_cbranch_execnz .LBB6_1742
; %bb.1398:                             ;   in Loop: Header=BB6_1368 Depth=2
	ds_load_b64 v[9:10], v0
	v_add_co_u32 v80, vcc_lo, v80, v147
	v_add_co_ci_u32_e32 v81, vcc_lo, 0, v81, vcc_lo
	s_mov_b32 s15, exec_lo
	s_waitcnt lgkmcnt(0)
	s_delay_alu instid0(VALU_DEP_1)
	v_cmpx_lt_u64_e64 v[9:10], v[80:81]
	s_cbranch_execz .LBB6_1409
; %bb.1399:                             ;   in Loop: Header=BB6_1368 Depth=2
	s_mov_b32 s30, 0
	s_mov_b32 s35, 0
                                        ; implicit-def: $sgpr31
                                        ; implicit-def: $sgpr34
	s_branch .LBB6_1401
.LBB6_1400:                             ;   in Loop: Header=BB6_1401 Depth=3
	s_or_b32 exec_lo, exec_lo, s37
	s_delay_alu instid0(SALU_CYCLE_1) | instskip(NEXT) | instid1(SALU_CYCLE_1)
	s_and_b32 vcc_lo, exec_lo, vcc_lo
	s_or_b32 s30, vcc_lo, s30
	s_and_not1_b32 vcc_lo, s31, exec_lo
	s_and_b32 s31, s34, exec_lo
	s_delay_alu instid0(SALU_CYCLE_1)
	s_or_b32 s31, vcc_lo, s31
	s_and_not1_b32 exec_lo, exec_lo, s30
	s_cbranch_execz .LBB6_1407
.LBB6_1401:                             ;   Parent Loop BB6_55 Depth=1
                                        ;     Parent Loop BB6_1368 Depth=2
                                        ; =>    This Inner Loop Header: Depth=3
	s_add_i32 s35, s35, 1
                                        ; implicit-def: $sgpr37
	s_delay_alu instid0(SALU_CYCLE_1) | instskip(SKIP_1) | instid1(SALU_CYCLE_1)
	s_cmpk_lg_i32 s35, 0x2710
	s_cselect_b32 s36, -1, 0
	s_and_b32 vcc_lo, exec_lo, s36
	s_cbranch_vccz .LBB6_1405
.LBB6_1402:                             ;   in Loop: Header=BB6_1401 Depth=3
	s_and_not1_b32 s34, s34, exec_lo
	s_and_b32 s37, s37, exec_lo
	s_mov_b32 vcc_lo, -1
	s_or_b32 s34, s34, s37
	s_and_saveexec_b32 s37, s36
	s_cbranch_execz .LBB6_1400
; %bb.1403:                             ;   in Loop: Header=BB6_1401 Depth=3
	s_sleep 1
	s_cbranch_execnz .LBB6_1816
; %bb.1404:                             ;   in Loop: Header=BB6_1401 Depth=3
	ds_load_b64 v[9:10], v0
	s_and_not1_b32 s34, s34, exec_lo
	s_waitcnt lgkmcnt(0)
	v_cmp_ge_u64_e32 vcc_lo, v[9:10], v[80:81]
	s_or_not1_b32 vcc_lo, vcc_lo, exec_lo
	s_branch .LBB6_1400
.LBB6_1405:                             ;   in Loop: Header=BB6_1401 Depth=3
	s_cbranch_execnz .LBB6_1836
; %bb.1406:                             ;   in Loop: Header=BB6_1401 Depth=3
	ds_load_b64 v[9:10], v0
	s_and_not1_b32 s36, s36, exec_lo
	s_mov_b32 s35, 0
	s_mov_b32 s37, -1
	s_waitcnt lgkmcnt(0)
	flat_load_b32 v2, v[9:10] glc
	s_waitcnt vmcnt(0) lgkmcnt(0)
	buffer_gl1_inv
	buffer_gl0_inv
	v_cmp_eq_u32_e32 vcc_lo, 0, v2
	s_and_b32 vcc_lo, vcc_lo, exec_lo
	s_delay_alu instid0(SALU_CYCLE_1)
	s_or_b32 s36, s36, vcc_lo
	s_branch .LBB6_1402
.LBB6_1407:                             ;   in Loop: Header=BB6_1368 Depth=2
	s_or_b32 exec_lo, exec_lo, s30
	s_and_saveexec_b32 vcc_lo, s31
	s_delay_alu instid0(SALU_CYCLE_1)
	s_xor_b32 vcc_lo, exec_lo, vcc_lo
	s_cbranch_execz .LBB6_1409
; %bb.1408:                             ;   in Loop: Header=BB6_1368 Depth=2
	ds_store_b32 v0, v41
	s_cbranch_execnz .LBB6_1958
.LBB6_1409:                             ;   in Loop: Header=BB6_1368 Depth=2
	s_or_b32 exec_lo, exec_lo, s15
	;;#ASMSTART
	s_wakeup
	;;#ASMEND
.LBB6_1410:                             ;   in Loop: Header=BB6_1368 Depth=2
	s_or_b32 exec_lo, exec_lo, s13
.LBB6_1411:                             ;   in Loop: Header=BB6_1368 Depth=2
	s_and_not1_saveexec_b32 s4, s4
	s_cbranch_execz .LBB6_1413
; %bb.1412:                             ;   in Loop: Header=BB6_1368 Depth=2
	s_waitcnt lgkmcnt(0)
	s_waitcnt_vscnt null, 0x0
	buffer_gl1_inv
	buffer_gl0_inv
	s_barrier
.LBB6_1413:                             ;   in Loop: Header=BB6_1368 Depth=2
	s_or_b32 exec_lo, exec_lo, s4
.LBB6_1414:                             ;   in Loop: Header=BB6_1368 Depth=2
	s_delay_alu instid0(SALU_CYCLE_1) | instskip(SKIP_1) | instid1(VALU_DEP_1)
	s_or_b32 exec_lo, exec_lo, s2
	v_sub_nc_u32_e32 v2, v16, v8
	v_min_i32_e32 v17, v17, v2
	s_and_saveexec_b32 s2, s7
	s_delay_alu instid0(SALU_CYCLE_1)
	s_xor_b32 s2, exec_lo, s2
	s_cbranch_execz .LBB6_1419
; %bb.1415:                             ;   in Loop: Header=BB6_1368 Depth=2
	s_cbranch_execnz .LBB6_1648
; %bb.1416:                             ;   in Loop: Header=BB6_1368 Depth=2
	ds_load_b32 v2, v0
	v_cmp_lt_i32_e32 vcc_lo, 0, v17
	s_waitcnt lgkmcnt(0)
	v_readfirstlane_b32 s4, v2
	v_and_b32_e32 v2, 16, v30
	s_delay_alu instid0(VALU_DEP_2) | instskip(NEXT) | instid1(VALU_DEP_1)
	s_cmp_eq_u32 s4, 0
	v_cmp_ne_u32_e64 s13, 0, v2
	s_cselect_b32 s4, -1, 0
	s_delay_alu instid0(SALU_CYCLE_1)
	s_and_b32 s4, vcc_lo, s4
	s_delay_alu instid0(VALU_DEP_1) | instid1(SALU_CYCLE_1)
	s_and_b32 s13, s13, s4
	s_delay_alu instid0(SALU_CYCLE_1)
	s_and_saveexec_b32 s4, s13
	s_cbranch_execz .LBB6_1418
; %bb.1417:                             ;   in Loop: Header=BB6_1368 Depth=2
	s_waitcnt_vscnt null, 0x0
	buffer_gl1_inv
	buffer_gl0_inv
.LBB6_1418:                             ;   in Loop: Header=BB6_1368 Depth=2
	s_or_b32 exec_lo, exec_lo, s4
.LBB6_1419:                             ;   in Loop: Header=BB6_1368 Depth=2
	s_and_not1_saveexec_b32 s2, s2
	s_cbranch_execz .LBB6_1441
; %bb.1420:                             ;   in Loop: Header=BB6_1368 Depth=2
	s_and_saveexec_b32 s4, s41
	s_delay_alu instid0(SALU_CYCLE_1)
	s_xor_b32 s4, exec_lo, s4
	s_cbranch_execz .LBB6_1438
; %bb.1421:                             ;   in Loop: Header=BB6_1368 Depth=2
	s_and_saveexec_b32 s13, s1
	s_cbranch_execz .LBB6_1437
; %bb.1422:                             ;   in Loop: Header=BB6_1368 Depth=2
	s_mov_b32 s30, exec_lo
	s_mov_b32 s15, exec_lo
	v_mbcnt_lo_u32_b32 v2, s30, 0
	;;#ASMSTART
	s_waitcnt lgkmcnt(0) vmcnt(0)
	;;#ASMEND
	s_delay_alu instid0(VALU_DEP_1)
	v_cmpx_eq_u32_e32 0, v2
	s_cbranch_execz .LBB6_1424
; %bb.1423:                             ;   in Loop: Header=BB6_1368 Depth=2
	s_bcnt1_i32_b32 vcc_lo, s30
	s_delay_alu instid0(SALU_CYCLE_1)
	v_mov_b32_e32 v2, vcc_lo
	ds_add_u64 v0, v[2:3]
	s_cbranch_execnz .LBB6_1790
.LBB6_1424:                             ;   in Loop: Header=BB6_1368 Depth=2
	s_or_b32 exec_lo, exec_lo, s15
	s_cbranch_execnz .LBB6_1762
; %bb.1425:                             ;   in Loop: Header=BB6_1368 Depth=2
	ds_load_b64 v[9:10], v0
	v_add_co_u32 v80, vcc_lo, v80, v147
	v_add_co_ci_u32_e32 v81, vcc_lo, 0, v81, vcc_lo
	s_mov_b32 s15, exec_lo
	s_waitcnt lgkmcnt(0)
	s_delay_alu instid0(VALU_DEP_1)
	v_cmpx_lt_u64_e64 v[9:10], v[80:81]
	s_cbranch_execz .LBB6_1436
; %bb.1426:                             ;   in Loop: Header=BB6_1368 Depth=2
	s_mov_b32 s30, 0
	s_mov_b32 s35, 0
                                        ; implicit-def: $sgpr31
                                        ; implicit-def: $sgpr34
	s_branch .LBB6_1428
.LBB6_1427:                             ;   in Loop: Header=BB6_1428 Depth=3
	s_or_b32 exec_lo, exec_lo, s37
	s_delay_alu instid0(SALU_CYCLE_1) | instskip(NEXT) | instid1(SALU_CYCLE_1)
	s_and_b32 vcc_lo, exec_lo, vcc_lo
	s_or_b32 s30, vcc_lo, s30
	s_and_not1_b32 vcc_lo, s31, exec_lo
	s_and_b32 s31, s34, exec_lo
	s_delay_alu instid0(SALU_CYCLE_1)
	s_or_b32 s31, vcc_lo, s31
	s_and_not1_b32 exec_lo, exec_lo, s30
	s_cbranch_execz .LBB6_1434
.LBB6_1428:                             ;   Parent Loop BB6_55 Depth=1
                                        ;     Parent Loop BB6_1368 Depth=2
                                        ; =>    This Inner Loop Header: Depth=3
	s_add_i32 s35, s35, 1
                                        ; implicit-def: $sgpr37
	s_delay_alu instid0(SALU_CYCLE_1) | instskip(SKIP_1) | instid1(SALU_CYCLE_1)
	s_cmpk_lg_i32 s35, 0x2710
	s_cselect_b32 s36, -1, 0
	s_and_b32 vcc_lo, exec_lo, s36
	s_cbranch_vccz .LBB6_1432
.LBB6_1429:                             ;   in Loop: Header=BB6_1428 Depth=3
	s_and_not1_b32 s34, s34, exec_lo
	s_and_b32 s37, s37, exec_lo
	s_mov_b32 vcc_lo, -1
	s_or_b32 s34, s34, s37
	s_and_saveexec_b32 s37, s36
	s_cbranch_execz .LBB6_1427
; %bb.1430:                             ;   in Loop: Header=BB6_1428 Depth=3
	s_sleep 1
	s_cbranch_execnz .LBB6_1842
; %bb.1431:                             ;   in Loop: Header=BB6_1428 Depth=3
	ds_load_b64 v[9:10], v0
	s_and_not1_b32 s34, s34, exec_lo
	s_waitcnt lgkmcnt(0)
	v_cmp_ge_u64_e32 vcc_lo, v[9:10], v[80:81]
	s_or_not1_b32 vcc_lo, vcc_lo, exec_lo
	s_branch .LBB6_1427
.LBB6_1432:                             ;   in Loop: Header=BB6_1428 Depth=3
	s_cbranch_execnz .LBB6_1862
; %bb.1433:                             ;   in Loop: Header=BB6_1428 Depth=3
	ds_load_b64 v[9:10], v0
	s_and_not1_b32 s36, s36, exec_lo
	s_mov_b32 s35, 0
	s_mov_b32 s37, -1
	s_waitcnt lgkmcnt(0)
	s_waitcnt_vscnt null, 0x0
	flat_load_b32 v2, v[9:10] glc
	s_waitcnt vmcnt(0) lgkmcnt(0)
	buffer_gl1_inv
	buffer_gl0_inv
	v_cmp_eq_u32_e32 vcc_lo, 0, v2
	s_and_b32 vcc_lo, vcc_lo, exec_lo
	s_delay_alu instid0(SALU_CYCLE_1)
	s_or_b32 s36, s36, vcc_lo
	s_branch .LBB6_1429
.LBB6_1434:                             ;   in Loop: Header=BB6_1368 Depth=2
	s_or_b32 exec_lo, exec_lo, s30
	s_and_saveexec_b32 vcc_lo, s31
	s_delay_alu instid0(SALU_CYCLE_1)
	s_xor_b32 vcc_lo, exec_lo, vcc_lo
	s_cbranch_execz .LBB6_1436
; %bb.1435:                             ;   in Loop: Header=BB6_1368 Depth=2
	ds_store_b32 v0, v41
	s_cbranch_execnz .LBB6_1966
.LBB6_1436:                             ;   in Loop: Header=BB6_1368 Depth=2
	s_or_b32 exec_lo, exec_lo, s15
	;;#ASMSTART
	s_wakeup
	;;#ASMEND
.LBB6_1437:                             ;   in Loop: Header=BB6_1368 Depth=2
	s_or_b32 exec_lo, exec_lo, s13
.LBB6_1438:                             ;   in Loop: Header=BB6_1368 Depth=2
	s_and_not1_saveexec_b32 s4, s4
	s_cbranch_execz .LBB6_1440
; %bb.1439:                             ;   in Loop: Header=BB6_1368 Depth=2
	;;#ASMSTART
	s_waitcnt lgkmcnt(0) vmcnt(0)
	;;#ASMEND
	s_waitcnt lgkmcnt(0)
	s_waitcnt_vscnt null, 0x0
	s_barrier
.LBB6_1440:                             ;   in Loop: Header=BB6_1368 Depth=2
	s_or_b32 exec_lo, exec_lo, s4
.LBB6_1441:                             ;   in Loop: Header=BB6_1368 Depth=2
	s_delay_alu instid0(SALU_CYCLE_1) | instskip(SKIP_2) | instid1(VALU_DEP_1)
	s_or_b32 exec_lo, exec_lo, s2
	v_and_b32_e32 v2, 32, v30
	s_mov_b32 s2, exec_lo
	v_cmpx_ne_u32_e32 0, v2
	s_cbranch_execz .LBB6_1443
; %bb.1442:                             ;   in Loop: Header=BB6_1368 Depth=2
	v_add_co_u32 v66, vcc_lo, v66, 2
	v_add_co_ci_u32_e32 v67, vcc_lo, 0, v67, vcc_lo
	s_waitcnt lgkmcnt(0)
	s_waitcnt_vscnt null, 0x0
	flat_store_b64 v[64:65], v[66:67]
.LBB6_1443:                             ;   in Loop: Header=BB6_1368 Depth=2
	s_or_b32 exec_lo, exec_lo, s2
	v_add_nc_u32_e32 v8, v17, v8
	s_mov_b32 s2, 0
	s_and_not1_b32 exec_lo, exec_lo, s14
	s_cbranch_execnz .LBB6_1368
; %bb.1444:                             ;   in Loop: Header=BB6_55 Depth=1
	s_or_b32 exec_lo, exec_lo, s14
.LBB6_1445:                             ;   in Loop: Header=BB6_55 Depth=1
	s_delay_alu instid0(SALU_CYCLE_1)
	s_or_b32 exec_lo, exec_lo, s11
	v_add_co_u32 v86, vcc_lo, v86, v84
	v_add_co_ci_u32_e32 v87, vcc_lo, v87, v85, vcc_lo
	v_readlane_b32 s2, v74, 3
	v_readlane_b32 s30, v74, 9
	;; [unrolled: 1-line block ×3, first 2 shown]
	s_delay_alu instid0(VALU_DEP_4)
	v_cmp_ge_i64_e32 vcc_lo, v[86:87], v[4:5]
	s_mov_b32 s34, s21
	v_readlane_b32 s21, v74, 13
	v_readlane_b32 s37, v74, 19
	v_mov_b32_e32 v21, 1
	s_mov_b32 s35, s16
	s_or_b32 s14, vcc_lo, s22
	v_readlane_b32 s22, v74, 7
	s_mov_b32 s36, s17
	s_mov_b32 s16, s12
	;; [unrolled: 1-line block ×6, first 2 shown]
	v_readlane_b32 s4, v74, 0
	s_and_not1_b32 exec_lo, exec_lo, s14
	s_cbranch_execnz .LBB6_55
; %bb.1446:
	s_or_b32 exec_lo, exec_lo, s14
.LBB6_1447:
	s_delay_alu instid0(SALU_CYCLE_1) | instskip(SKIP_2) | instid1(VALU_DEP_1)
	s_or_b32 exec_lo, exec_lo, s28
	v_and_b32_e32 v0, 0x800, v30
	s_mov_b32 s0, exec_lo
	v_cmpx_eq_u32_e32 0, v0
	s_cbranch_execz .LBB6_1698
; %bb.1448:
	v_and_b32_e32 v0, 48, v30
	s_mov_b32 s1, exec_lo
	s_delay_alu instid0(VALU_DEP_1)
	v_cmpx_ne_u32_e32 0, v0
	s_cbranch_execz .LBB6_1450
; %bb.1449:
	flat_store_b64 v[54:55], v[66:67] offset:104
.LBB6_1450:
	s_or_b32 exec_lo, exec_lo, s1
	v_and_b32_e32 v0, 0x88, v30
	s_mov_b32 s1, exec_lo
	s_delay_alu instid0(VALU_DEP_1)
	v_cmpx_eq_u32_e32 0x88, v0
	s_cbranch_execz .LBB6_1496
; %bb.1451:
	v_add_nc_u32_e32 v0, 6, v66
	s_mov_b32 s2, 0
                                        ; implicit-def: $sgpr3
	s_delay_alu instid0(VALU_DEP_1) | instskip(NEXT) | instid1(VALU_DEP_1)
	v_and_b32_e32 v0, 7, v0
	v_mad_u64_u32 v[2:3], null, v0, 24, v[6:7]
	v_mov_b32_e32 v0, 0
	s_delay_alu instid0(VALU_DEP_2) | instskip(NEXT) | instid1(VALU_DEP_3)
	v_add_co_u32 v2, vcc_lo, v2, 8
	v_add_co_ci_u32_e32 v3, vcc_lo, 0, v3, vcc_lo
	s_branch .LBB6_1482
.LBB6_1452:
	s_trap 2
	s_sendmsg_rtn_b32 s0, sendmsg(MSG_RTN_GET_DOORBELL)
	s_mov_b32 ttmp2, m0
	s_waitcnt lgkmcnt(0)
	s_and_b32 s0, s0, 0x3ff
	s_delay_alu instid0(SALU_CYCLE_1) | instskip(NEXT) | instid1(SALU_CYCLE_1)
	s_bitset1_b32 s0, 10
	s_mov_b32 m0, s0
	s_sendmsg sendmsg(MSG_INTERRUPT)
	s_mov_b32 m0, ttmp2
.LBB6_1453:                             ; =>This Inner Loop Header: Depth=1
	s_sethalt 5
	s_branch .LBB6_1453
.LBB6_1454:
	s_and_not1_saveexec_b32 s0, s0
	s_cbranch_execz .LBB6_7
.LBB6_1455:
	s_clause 0x1
	flat_load_b64 v[6:7], v[2:3] offset:96
	flat_load_b64 v[4:5], v[2:3] offset:72
	v_mov_b32_e32 v28, 0
	v_mov_b32_e32 v29, 0
	s_waitcnt vmcnt(1) lgkmcnt(1)
	v_lshlrev_b64 v[14:15], 6, v[6:7]
	s_or_b32 exec_lo, exec_lo, s0
	s_cbranch_execz .LBB6_8
.LBB6_1456:
	s_trap 2
	s_sendmsg_rtn_b32 s0, sendmsg(MSG_RTN_GET_DOORBELL)
	s_mov_b32 ttmp2, m0
	s_waitcnt lgkmcnt(0)
	s_and_b32 s0, s0, 0x3ff
	s_delay_alu instid0(SALU_CYCLE_1) | instskip(NEXT) | instid1(SALU_CYCLE_1)
	s_bitset1_b32 s0, 10
	s_mov_b32 m0, s0
	s_sendmsg sendmsg(MSG_INTERRUPT)
	s_mov_b32 m0, ttmp2
.LBB6_1457:                             ; =>This Inner Loop Header: Depth=1
	s_sethalt 5
	s_branch .LBB6_1457
.LBB6_1458:
	s_trap 2
	s_sendmsg_rtn_b32 s0, sendmsg(MSG_RTN_GET_DOORBELL)
	s_mov_b32 ttmp2, m0
	s_waitcnt lgkmcnt(0)
	s_and_b32 s0, s0, 0x3ff
	s_delay_alu instid0(SALU_CYCLE_1) | instskip(NEXT) | instid1(SALU_CYCLE_1)
	s_bitset1_b32 s0, 10
	s_mov_b32 m0, s0
	s_sendmsg sendmsg(MSG_INTERRUPT)
	s_mov_b32 m0, ttmp2
.LBB6_1459:                             ; =>This Inner Loop Header: Depth=1
	s_sethalt 5
	s_branch .LBB6_1459
.LBB6_1460:
	s_trap 2
	s_sendmsg_rtn_b32 s0, sendmsg(MSG_RTN_GET_DOORBELL)
	s_mov_b32 ttmp2, m0
	s_waitcnt lgkmcnt(0)
	s_and_b32 s0, s0, 0x3ff
	s_delay_alu instid0(SALU_CYCLE_1) | instskip(NEXT) | instid1(SALU_CYCLE_1)
	s_bitset1_b32 s0, 10
	s_mov_b32 m0, s0
	s_sendmsg sendmsg(MSG_INTERRUPT)
	s_mov_b32 m0, ttmp2
.LBB6_1461:                             ; =>This Inner Loop Header: Depth=1
	s_sethalt 5
	s_branch .LBB6_1461
.LBB6_1462:
	s_trap 2
	s_sendmsg_rtn_b32 s0, sendmsg(MSG_RTN_GET_DOORBELL)
	s_mov_b32 ttmp2, m0
	s_waitcnt lgkmcnt(0)
	s_and_b32 s0, s0, 0x3ff
	s_delay_alu instid0(SALU_CYCLE_1) | instskip(NEXT) | instid1(SALU_CYCLE_1)
	s_bitset1_b32 s0, 10
	s_mov_b32 m0, s0
	s_sendmsg sendmsg(MSG_INTERRUPT)
	s_mov_b32 m0, ttmp2
.LBB6_1463:                             ; =>This Inner Loop Header: Depth=1
	s_sethalt 5
	s_branch .LBB6_1463
.LBB6_1464:
	s_trap 2
	s_sendmsg_rtn_b32 s0, sendmsg(MSG_RTN_GET_DOORBELL)
	s_mov_b32 ttmp2, m0
	s_waitcnt lgkmcnt(0)
	s_and_b32 s0, s0, 0x3ff
	s_delay_alu instid0(SALU_CYCLE_1) | instskip(NEXT) | instid1(SALU_CYCLE_1)
	s_bitset1_b32 s0, 10
	s_mov_b32 m0, s0
	s_sendmsg sendmsg(MSG_INTERRUPT)
	s_mov_b32 m0, ttmp2
.LBB6_1465:                             ; =>This Inner Loop Header: Depth=1
	s_sethalt 5
	s_branch .LBB6_1465
.LBB6_1466:
	s_trap 2
	s_sendmsg_rtn_b32 s0, sendmsg(MSG_RTN_GET_DOORBELL)
	s_mov_b32 ttmp2, m0
	s_waitcnt lgkmcnt(0)
	s_and_b32 s0, s0, 0x3ff
	s_delay_alu instid0(SALU_CYCLE_1) | instskip(NEXT) | instid1(SALU_CYCLE_1)
	s_bitset1_b32 s0, 10
	s_mov_b32 m0, s0
	s_sendmsg sendmsg(MSG_INTERRUPT)
	s_mov_b32 m0, ttmp2
.LBB6_1467:                             ; =>This Inner Loop Header: Depth=1
	s_sethalt 5
	s_branch .LBB6_1467
.LBB6_1468:
	s_trap 2
	s_sendmsg_rtn_b32 s0, sendmsg(MSG_RTN_GET_DOORBELL)
	s_mov_b32 ttmp2, m0
	s_waitcnt lgkmcnt(0)
	s_and_b32 s0, s0, 0x3ff
	s_delay_alu instid0(SALU_CYCLE_1) | instskip(NEXT) | instid1(SALU_CYCLE_1)
	s_bitset1_b32 s0, 10
	s_mov_b32 m0, s0
	s_sendmsg sendmsg(MSG_INTERRUPT)
	s_mov_b32 m0, ttmp2
.LBB6_1469:                             ; =>This Inner Loop Header: Depth=1
	s_sethalt 5
	s_branch .LBB6_1469
.LBB6_1470:
	s_trap 2
	s_sendmsg_rtn_b32 s0, sendmsg(MSG_RTN_GET_DOORBELL)
	s_mov_b32 ttmp2, m0
	s_waitcnt lgkmcnt(0)
	s_and_b32 s0, s0, 0x3ff
	s_delay_alu instid0(SALU_CYCLE_1) | instskip(NEXT) | instid1(SALU_CYCLE_1)
	s_bitset1_b32 s0, 10
	s_mov_b32 m0, s0
	s_sendmsg sendmsg(MSG_INTERRUPT)
	s_mov_b32 m0, ttmp2
.LBB6_1471:                             ; =>This Inner Loop Header: Depth=1
	s_sethalt 5
	s_branch .LBB6_1471
.LBB6_1472:
	s_trap 2
	s_sendmsg_rtn_b32 s0, sendmsg(MSG_RTN_GET_DOORBELL)
	s_mov_b32 ttmp2, m0
	s_waitcnt lgkmcnt(0)
	s_and_b32 s0, s0, 0x3ff
	s_delay_alu instid0(SALU_CYCLE_1) | instskip(NEXT) | instid1(SALU_CYCLE_1)
	s_bitset1_b32 s0, 10
	s_mov_b32 m0, s0
	s_sendmsg sendmsg(MSG_INTERRUPT)
	s_mov_b32 m0, ttmp2
.LBB6_1473:                             ; =>This Inner Loop Header: Depth=1
	s_sethalt 5
	s_branch .LBB6_1473
.LBB6_1474:
	s_trap 2
	s_sendmsg_rtn_b32 s0, sendmsg(MSG_RTN_GET_DOORBELL)
	s_mov_b32 ttmp2, m0
	s_waitcnt lgkmcnt(0)
	s_and_b32 s0, s0, 0x3ff
	s_delay_alu instid0(SALU_CYCLE_1) | instskip(NEXT) | instid1(SALU_CYCLE_1)
	s_bitset1_b32 s0, 10
	s_mov_b32 m0, s0
	s_sendmsg sendmsg(MSG_INTERRUPT)
	s_mov_b32 m0, ttmp2
.LBB6_1475:                             ; =>This Inner Loop Header: Depth=1
	s_sethalt 5
	s_branch .LBB6_1475
.LBB6_1476:
	s_trap 2
	s_sendmsg_rtn_b32 s0, sendmsg(MSG_RTN_GET_DOORBELL)
	s_mov_b32 ttmp2, m0
	s_waitcnt lgkmcnt(0)
	s_and_b32 s0, s0, 0x3ff
	s_delay_alu instid0(SALU_CYCLE_1) | instskip(NEXT) | instid1(SALU_CYCLE_1)
	s_bitset1_b32 s0, 10
	s_mov_b32 m0, s0
	s_sendmsg sendmsg(MSG_INTERRUPT)
	s_mov_b32 m0, ttmp2
.LBB6_1477:                             ; =>This Inner Loop Header: Depth=1
	s_sethalt 5
	s_branch .LBB6_1477
.LBB6_1478:                             ;   in Loop: Header=BB6_1482 Depth=1
	s_or_b32 exec_lo, exec_lo, s10
	v_mov_b32_e32 v4, 0
	s_or_not1_b32 s7, s7, exec_lo
.LBB6_1479:                             ;   in Loop: Header=BB6_1482 Depth=1
	s_or_b32 exec_lo, exec_lo, s6
	s_delay_alu instid0(VALU_DEP_1)
	v_mov_b32_e32 v0, v4
	s_and_b32 s6, s7, exec_lo
.LBB6_1480:                             ;   in Loop: Header=BB6_1482 Depth=1
	s_or_b32 exec_lo, exec_lo, s5
	s_xor_b32 s5, s6, -1
	s_and_not1_b32 s3, s3, exec_lo
	s_and_b32 s5, s5, exec_lo
	s_delay_alu instid0(SALU_CYCLE_1)
	s_or_b32 s3, s3, s5
.LBB6_1481:                             ;   in Loop: Header=BB6_1482 Depth=1
	s_or_b32 exec_lo, exec_lo, s4
	s_delay_alu instid0(SALU_CYCLE_1) | instskip(NEXT) | instid1(SALU_CYCLE_1)
	s_and_b32 s4, exec_lo, s3
	s_or_b32 s2, s4, s2
	s_delay_alu instid0(SALU_CYCLE_1)
	s_and_not1_b32 exec_lo, exec_lo, s2
	s_cbranch_execz .LBB6_1495
.LBB6_1482:                             ; =>This Inner Loop Header: Depth=1
	flat_load_b64 v[4:5], v[2:3] glc dlc
	s_waitcnt vmcnt(0)
	s_or_b32 s3, s3, exec_lo
	s_mov_b32 s4, exec_lo
	s_waitcnt lgkmcnt(0)
	v_cmpx_ne_u64_e32 -1, v[4:5]
	s_cbranch_execz .LBB6_1481
; %bb.1483:                             ;   in Loop: Header=BB6_1482 Depth=1
	v_and_b32_e32 v4, 64, v30
	s_mov_b32 s6, 0
	s_mov_b32 s5, exec_lo
	s_delay_alu instid0(VALU_DEP_1)
	v_cmpx_eq_u32_e32 0, v4
	s_cbranch_execz .LBB6_1480
; %bb.1484:                             ;   in Loop: Header=BB6_1482 Depth=1
	v_add_nc_u32_e32 v4, 1, v0
	s_mov_b32 s7, -1
	s_mov_b32 s6, exec_lo
	v_cmpx_lt_i32_e32 0x270e, v0
	s_cbranch_execz .LBB6_1479
; %bb.1485:                             ;   in Loop: Header=BB6_1482 Depth=1
	s_cbranch_execnz .LBB6_1489
; %bb.1486:                             ;   in Loop: Header=BB6_1482 Depth=1
	ds_load_b64 v[4:5], v0
	s_mov_b32 s10, exec_lo
	s_waitcnt lgkmcnt(0)
	s_waitcnt_vscnt null, 0x0
	flat_load_b32 v0, v[4:5] glc
	s_waitcnt vmcnt(0) lgkmcnt(0)
	buffer_gl1_inv
	buffer_gl0_inv
	v_cmpx_ne_u32_e32 0, v0
	s_cbranch_execz .LBB6_1478
; %bb.1487:                             ;   in Loop: Header=BB6_1482 Depth=1
	ds_store_b32 v0, v0
	s_cbranch_execnz .LBB6_1513
; %bb.1488:                             ;   in Loop: Header=BB6_1482 Depth=1
	v_or_b32_e32 v30, 64, v30
	s_xor_b32 s7, exec_lo, -1
	s_branch .LBB6_1478
.LBB6_1489:
	s_trap 2
	s_sendmsg_rtn_b32 s0, sendmsg(MSG_RTN_GET_DOORBELL)
	s_mov_b32 ttmp2, m0
	s_waitcnt lgkmcnt(0)
	s_and_b32 s0, s0, 0x3ff
	s_delay_alu instid0(SALU_CYCLE_1) | instskip(NEXT) | instid1(SALU_CYCLE_1)
	s_bitset1_b32 s0, 10
	s_mov_b32 m0, s0
	s_sendmsg sendmsg(MSG_INTERRUPT)
	s_mov_b32 m0, ttmp2
.LBB6_1490:                             ; =>This Inner Loop Header: Depth=1
	s_sethalt 5
	s_branch .LBB6_1490
.LBB6_1491:
	s_trap 2
	s_sendmsg_rtn_b32 s0, sendmsg(MSG_RTN_GET_DOORBELL)
	s_mov_b32 ttmp2, m0
	s_waitcnt lgkmcnt(0)
	s_and_b32 s0, s0, 0x3ff
	s_delay_alu instid0(SALU_CYCLE_1) | instskip(NEXT) | instid1(SALU_CYCLE_1)
	s_bitset1_b32 s0, 10
	s_mov_b32 m0, s0
	s_sendmsg sendmsg(MSG_INTERRUPT)
	s_mov_b32 m0, ttmp2
.LBB6_1492:                             ; =>This Inner Loop Header: Depth=1
	s_sethalt 5
	s_branch .LBB6_1492
.LBB6_1493:
	s_trap 2
	s_sendmsg_rtn_b32 s0, sendmsg(MSG_RTN_GET_DOORBELL)
	s_mov_b32 ttmp2, m0
	s_waitcnt lgkmcnt(0)
	s_and_b32 s0, s0, 0x3ff
	s_delay_alu instid0(SALU_CYCLE_1) | instskip(NEXT) | instid1(SALU_CYCLE_1)
	s_bitset1_b32 s0, 10
	s_mov_b32 m0, s0
	s_sendmsg sendmsg(MSG_INTERRUPT)
	s_mov_b32 m0, ttmp2
.LBB6_1494:                             ; =>This Inner Loop Header: Depth=1
	s_sethalt 5
	s_branch .LBB6_1494
.LBB6_1495:
	s_or_b32 exec_lo, exec_lo, s2
.LBB6_1496:
	s_delay_alu instid0(SALU_CYCLE_1) | instskip(SKIP_2) | instid1(VALU_DEP_1)
	s_or_b32 exec_lo, exec_lo, s1
	v_and_b32_e32 v0, 0x2000, v30
	s_mov_b32 s1, exec_lo
	v_cmpx_ne_u32_e32 0, v0
	s_cbranch_execz .LBB6_1499
; %bb.1497:
	s_cbranch_execnz .LBB6_1507
; %bb.1498:
	ds_load_b64 v[2:3], v0
	s_waitcnt lgkmcnt(0)
	flat_store_b64 v[52:53], v[2:3] offset:16
.LBB6_1499:
	s_or_b32 exec_lo, exec_lo, s1
	v_cmp_ne_u32_e32 vcc_lo, 32, v1
	s_and_b32 exec_lo, exec_lo, vcc_lo
	s_cbranch_execz .LBB6_1698
; %bb.1500:
	s_mov_b32 s1, exec_lo
	v_cmpx_ne_u32_e64 v144, v1
	s_xor_b32 s1, exec_lo, s1
	s_cbranch_execz .LBB6_1696
; %bb.1501:
	v_and_b32_e32 v0, 31, v31
	s_mov_b32 s2, exec_lo
	s_delay_alu instid0(VALU_DEP_1)
	v_cmpx_eq_u32_e32 0, v0
	s_cbranch_execz .LBB6_1695
; %bb.1502:
	s_mov_b32 s4, exec_lo
	s_mov_b32 s3, exec_lo
	v_mbcnt_lo_u32_b32 v0, s4, 0
	s_waitcnt lgkmcnt(0)
	s_waitcnt_vscnt null, 0x0
	buffer_gl1_inv
	buffer_gl0_inv
	v_cmpx_eq_u32_e32 0, v0
	s_cbranch_execz .LBB6_1504
; %bb.1503:
	s_bcnt1_i32_b32 s4, s4
	s_delay_alu instid0(SALU_CYCLE_1)
	v_dual_mov_b32 v3, 0 :: v_dual_mov_b32 v2, s4
	ds_add_u64 v0, v[2:3]
	s_cbranch_execnz .LBB6_1542
.LBB6_1504:
	s_or_b32 exec_lo, exec_lo, s3
	s_cbranch_execnz .LBB6_1521
; %bb.1505:
	v_ashrrev_i32_e32 v0, 31, v1
	s_mov_b32 s3, exec_lo
	s_delay_alu instid0(VALU_DEP_1) | instskip(NEXT) | instid1(VALU_DEP_1)
	v_lshrrev_b32_e32 v0, 27, v0
	v_add_nc_u32_e32 v0, v1, v0
	ds_load_b64 v[2:3], v0
	v_ashrrev_i32_e32 v0, 5, v0
	s_delay_alu instid0(VALU_DEP_1) | instskip(SKIP_1) | instid1(VALU_DEP_2)
	v_ashrrev_i32_e32 v1, 31, v0
	v_add_co_u32 v0, vcc_lo, v80, v0
	v_add_co_ci_u32_e32 v1, vcc_lo, v81, v1, vcc_lo
	s_waitcnt lgkmcnt(0)
	s_delay_alu instid0(VALU_DEP_1)
	v_cmpx_lt_u64_e64 v[2:3], v[0:1]
	s_cbranch_execz .LBB6_1694
; %bb.1506:
	s_mov_b32 s4, 0
	s_mov_b32 s7, 0
                                        ; implicit-def: $sgpr5
                                        ; implicit-def: $sgpr6
	s_branch .LBB6_1528
.LBB6_1507:
	s_trap 2
	s_sendmsg_rtn_b32 s0, sendmsg(MSG_RTN_GET_DOORBELL)
	s_mov_b32 ttmp2, m0
	s_waitcnt lgkmcnt(0)
	s_and_b32 s0, s0, 0x3ff
	s_delay_alu instid0(SALU_CYCLE_1) | instskip(NEXT) | instid1(SALU_CYCLE_1)
	s_bitset1_b32 s0, 10
	s_mov_b32 m0, s0
	s_sendmsg sendmsg(MSG_INTERRUPT)
	s_mov_b32 m0, ttmp2
.LBB6_1508:                             ; =>This Inner Loop Header: Depth=1
	s_sethalt 5
	s_branch .LBB6_1508
.LBB6_1509:
	s_trap 2
	s_sendmsg_rtn_b32 s0, sendmsg(MSG_RTN_GET_DOORBELL)
	s_mov_b32 ttmp2, m0
	s_waitcnt lgkmcnt(0)
	s_and_b32 s0, s0, 0x3ff
	s_delay_alu instid0(SALU_CYCLE_1) | instskip(NEXT) | instid1(SALU_CYCLE_1)
	s_bitset1_b32 s0, 10
	s_mov_b32 m0, s0
	s_sendmsg sendmsg(MSG_INTERRUPT)
	s_mov_b32 m0, ttmp2
.LBB6_1510:                             ; =>This Inner Loop Header: Depth=1
	s_sethalt 5
	s_branch .LBB6_1510
.LBB6_1511:
	s_trap 2
	s_sendmsg_rtn_b32 s0, sendmsg(MSG_RTN_GET_DOORBELL)
	s_mov_b32 ttmp2, m0
	s_waitcnt lgkmcnt(0)
	s_and_b32 s0, s0, 0x3ff
	s_delay_alu instid0(SALU_CYCLE_1) | instskip(NEXT) | instid1(SALU_CYCLE_1)
	s_bitset1_b32 s0, 10
	s_mov_b32 m0, s0
	s_sendmsg sendmsg(MSG_INTERRUPT)
	s_mov_b32 m0, ttmp2
.LBB6_1512:                             ; =>This Inner Loop Header: Depth=1
	s_sethalt 5
	s_branch .LBB6_1512
.LBB6_1513:
	s_trap 2
	s_sendmsg_rtn_b32 s0, sendmsg(MSG_RTN_GET_DOORBELL)
	s_mov_b32 ttmp2, m0
	s_waitcnt lgkmcnt(0)
	s_and_b32 s0, s0, 0x3ff
	s_delay_alu instid0(SALU_CYCLE_1) | instskip(NEXT) | instid1(SALU_CYCLE_1)
	s_bitset1_b32 s0, 10
	s_mov_b32 m0, s0
	s_sendmsg sendmsg(MSG_INTERRUPT)
	s_mov_b32 m0, ttmp2
.LBB6_1514:                             ; =>This Inner Loop Header: Depth=1
	s_sethalt 5
	s_branch .LBB6_1514
.LBB6_1515:
	s_trap 2
	s_sendmsg_rtn_b32 s0, sendmsg(MSG_RTN_GET_DOORBELL)
	s_mov_b32 ttmp2, m0
	s_waitcnt lgkmcnt(0)
	s_and_b32 s0, s0, 0x3ff
	s_delay_alu instid0(SALU_CYCLE_1) | instskip(NEXT) | instid1(SALU_CYCLE_1)
	s_bitset1_b32 s0, 10
	s_mov_b32 m0, s0
	s_sendmsg sendmsg(MSG_INTERRUPT)
	s_mov_b32 m0, ttmp2
.LBB6_1516:                             ; =>This Inner Loop Header: Depth=1
	s_sethalt 5
	s_branch .LBB6_1516
.LBB6_1517:
	s_trap 2
	s_sendmsg_rtn_b32 s0, sendmsg(MSG_RTN_GET_DOORBELL)
	s_mov_b32 ttmp2, m0
	s_waitcnt lgkmcnt(0)
	s_and_b32 s0, s0, 0x3ff
	s_delay_alu instid0(SALU_CYCLE_1) | instskip(NEXT) | instid1(SALU_CYCLE_1)
	s_bitset1_b32 s0, 10
	s_mov_b32 m0, s0
	s_sendmsg sendmsg(MSG_INTERRUPT)
	s_mov_b32 m0, ttmp2
.LBB6_1518:                             ; =>This Inner Loop Header: Depth=1
	s_sethalt 5
	s_branch .LBB6_1518
.LBB6_1519:
	s_trap 2
	s_sendmsg_rtn_b32 s0, sendmsg(MSG_RTN_GET_DOORBELL)
	s_mov_b32 ttmp2, m0
	s_waitcnt lgkmcnt(0)
	s_and_b32 s0, s0, 0x3ff
	s_delay_alu instid0(SALU_CYCLE_1) | instskip(NEXT) | instid1(SALU_CYCLE_1)
	s_bitset1_b32 s0, 10
	s_mov_b32 m0, s0
	s_sendmsg sendmsg(MSG_INTERRUPT)
	s_mov_b32 m0, ttmp2
.LBB6_1520:                             ; =>This Inner Loop Header: Depth=1
	s_sethalt 5
	s_branch .LBB6_1520
.LBB6_1521:
	s_trap 2
	s_sendmsg_rtn_b32 s0, sendmsg(MSG_RTN_GET_DOORBELL)
	s_mov_b32 ttmp2, m0
	s_waitcnt lgkmcnt(0)
	s_and_b32 s0, s0, 0x3ff
	s_delay_alu instid0(SALU_CYCLE_1) | instskip(NEXT) | instid1(SALU_CYCLE_1)
	s_bitset1_b32 s0, 10
	s_mov_b32 m0, s0
	s_sendmsg sendmsg(MSG_INTERRUPT)
	s_mov_b32 m0, ttmp2
.LBB6_1522:                             ; =>This Inner Loop Header: Depth=1
	s_sethalt 5
	s_branch .LBB6_1522
.LBB6_1523:
	s_trap 2
	s_sendmsg_rtn_b32 s0, sendmsg(MSG_RTN_GET_DOORBELL)
	s_mov_b32 ttmp2, m0
	s_waitcnt lgkmcnt(0)
	s_and_b32 s0, s0, 0x3ff
	s_delay_alu instid0(SALU_CYCLE_1) | instskip(NEXT) | instid1(SALU_CYCLE_1)
	s_bitset1_b32 s0, 10
	s_mov_b32 m0, s0
	s_sendmsg sendmsg(MSG_INTERRUPT)
	s_mov_b32 m0, ttmp2
.LBB6_1524:                             ; =>This Inner Loop Header: Depth=1
	s_sethalt 5
	s_branch .LBB6_1524
.LBB6_1525:
	s_trap 2
	s_sendmsg_rtn_b32 s0, sendmsg(MSG_RTN_GET_DOORBELL)
	s_mov_b32 ttmp2, m0
	s_waitcnt lgkmcnt(0)
	s_and_b32 s0, s0, 0x3ff
	s_delay_alu instid0(SALU_CYCLE_1) | instskip(NEXT) | instid1(SALU_CYCLE_1)
	s_bitset1_b32 s0, 10
	s_mov_b32 m0, s0
	s_sendmsg sendmsg(MSG_INTERRUPT)
	s_mov_b32 m0, ttmp2
.LBB6_1526:                             ; =>This Inner Loop Header: Depth=1
	s_sethalt 5
	s_branch .LBB6_1526
.LBB6_1527:                             ;   in Loop: Header=BB6_1528 Depth=1
	s_or_b32 exec_lo, exec_lo, s12
	s_delay_alu instid0(SALU_CYCLE_1) | instskip(NEXT) | instid1(SALU_CYCLE_1)
	s_and_b32 s10, exec_lo, s11
	s_or_b32 s4, s10, s4
	s_and_not1_b32 s5, s5, exec_lo
	s_and_b32 s10, s6, exec_lo
	s_delay_alu instid0(SALU_CYCLE_1)
	s_or_b32 s5, s5, s10
	s_and_not1_b32 exec_lo, exec_lo, s4
	s_cbranch_execz .LBB6_1692
.LBB6_1528:                             ; =>This Inner Loop Header: Depth=1
	s_add_i32 s7, s7, 1
                                        ; implicit-def: $sgpr11
	s_delay_alu instid0(SALU_CYCLE_1) | instskip(SKIP_1) | instid1(SALU_CYCLE_1)
	s_cmpk_lg_i32 s7, 0x2710
	s_cselect_b32 s10, -1, 0
	s_and_b32 vcc_lo, exec_lo, s10
	s_cbranch_vccz .LBB6_1532
.LBB6_1529:                             ;   in Loop: Header=BB6_1528 Depth=1
	s_and_not1_b32 s6, s6, exec_lo
	s_and_b32 s12, s11, exec_lo
	s_mov_b32 s11, -1
	s_or_b32 s6, s6, s12
	s_and_saveexec_b32 s12, s10
	s_cbranch_execz .LBB6_1527
; %bb.1530:                             ;   in Loop: Header=BB6_1528 Depth=1
	s_sleep 1
	s_cbranch_execnz .LBB6_1580
; %bb.1531:                             ;   in Loop: Header=BB6_1528 Depth=1
	ds_load_b64 v[2:3], v0
	s_and_not1_b32 s6, s6, exec_lo
	s_waitcnt lgkmcnt(0)
	v_cmp_ge_u64_e32 vcc_lo, v[2:3], v[0:1]
	s_or_not1_b32 s11, vcc_lo, exec_lo
	s_branch .LBB6_1527
.LBB6_1532:                             ;   in Loop: Header=BB6_1528 Depth=1
	s_cbranch_execnz .LBB6_1582
; %bb.1533:                             ;   in Loop: Header=BB6_1528 Depth=1
	ds_load_b64 v[2:3], v0
	s_and_not1_b32 s10, s10, exec_lo
	s_mov_b32 s7, 0
	s_mov_b32 s11, -1
	s_waitcnt lgkmcnt(0)
	flat_load_b32 v2, v[2:3] glc
	s_waitcnt vmcnt(0) lgkmcnt(0)
	buffer_gl1_inv
	buffer_gl0_inv
	v_cmp_eq_u32_e32 vcc_lo, 0, v2
	s_and_b32 s12, vcc_lo, exec_lo
	s_delay_alu instid0(SALU_CYCLE_1)
	s_or_b32 s10, s10, s12
	s_branch .LBB6_1529
.LBB6_1534:
	s_trap 2
	s_sendmsg_rtn_b32 s0, sendmsg(MSG_RTN_GET_DOORBELL)
	s_mov_b32 ttmp2, m0
	s_waitcnt lgkmcnt(0)
	s_and_b32 s0, s0, 0x3ff
	s_delay_alu instid0(SALU_CYCLE_1) | instskip(NEXT) | instid1(SALU_CYCLE_1)
	s_bitset1_b32 s0, 10
	s_mov_b32 m0, s0
	s_sendmsg sendmsg(MSG_INTERRUPT)
	s_mov_b32 m0, ttmp2
.LBB6_1535:                             ; =>This Inner Loop Header: Depth=1
	s_sethalt 5
	s_branch .LBB6_1535
.LBB6_1536:
	s_trap 2
	s_sendmsg_rtn_b32 s0, sendmsg(MSG_RTN_GET_DOORBELL)
	s_mov_b32 ttmp2, m0
	s_waitcnt lgkmcnt(0)
	s_and_b32 s0, s0, 0x3ff
	s_delay_alu instid0(SALU_CYCLE_1) | instskip(NEXT) | instid1(SALU_CYCLE_1)
	s_bitset1_b32 s0, 10
	s_mov_b32 m0, s0
	s_sendmsg sendmsg(MSG_INTERRUPT)
	s_mov_b32 m0, ttmp2
.LBB6_1537:                             ; =>This Inner Loop Header: Depth=1
	s_sethalt 5
	s_branch .LBB6_1537
.LBB6_1538:
	s_trap 2
	s_sendmsg_rtn_b32 s0, sendmsg(MSG_RTN_GET_DOORBELL)
	s_mov_b32 ttmp2, m0
	s_waitcnt lgkmcnt(0)
	s_and_b32 s0, s0, 0x3ff
	s_delay_alu instid0(SALU_CYCLE_1) | instskip(NEXT) | instid1(SALU_CYCLE_1)
	s_bitset1_b32 s0, 10
	s_mov_b32 m0, s0
	s_sendmsg sendmsg(MSG_INTERRUPT)
	s_mov_b32 m0, ttmp2
.LBB6_1539:                             ; =>This Inner Loop Header: Depth=1
	s_sethalt 5
	s_branch .LBB6_1539
.LBB6_1540:
	s_trap 2
	s_sendmsg_rtn_b32 s0, sendmsg(MSG_RTN_GET_DOORBELL)
	s_mov_b32 ttmp2, m0
	s_waitcnt lgkmcnt(0)
	s_and_b32 s0, s0, 0x3ff
	s_delay_alu instid0(SALU_CYCLE_1) | instskip(NEXT) | instid1(SALU_CYCLE_1)
	s_bitset1_b32 s0, 10
	s_mov_b32 m0, s0
	s_sendmsg sendmsg(MSG_INTERRUPT)
	s_mov_b32 m0, ttmp2
.LBB6_1541:                             ; =>This Inner Loop Header: Depth=1
	s_sethalt 5
	s_branch .LBB6_1541
.LBB6_1542:
	s_trap 2
	s_sendmsg_rtn_b32 s0, sendmsg(MSG_RTN_GET_DOORBELL)
	s_mov_b32 ttmp2, m0
	s_waitcnt lgkmcnt(0)
	s_and_b32 s0, s0, 0x3ff
	s_delay_alu instid0(SALU_CYCLE_1) | instskip(NEXT) | instid1(SALU_CYCLE_1)
	s_bitset1_b32 s0, 10
	s_mov_b32 m0, s0
	s_sendmsg sendmsg(MSG_INTERRUPT)
	s_mov_b32 m0, ttmp2
.LBB6_1543:                             ; =>This Inner Loop Header: Depth=1
	s_sethalt 5
	s_branch .LBB6_1543
.LBB6_1544:
	s_trap 2
	s_sendmsg_rtn_b32 s0, sendmsg(MSG_RTN_GET_DOORBELL)
	s_mov_b32 ttmp2, m0
	s_waitcnt lgkmcnt(0)
	s_and_b32 s0, s0, 0x3ff
	s_delay_alu instid0(SALU_CYCLE_1) | instskip(NEXT) | instid1(SALU_CYCLE_1)
	s_bitset1_b32 s0, 10
	s_mov_b32 m0, s0
	s_sendmsg sendmsg(MSG_INTERRUPT)
	s_mov_b32 m0, ttmp2
.LBB6_1545:                             ; =>This Inner Loop Header: Depth=1
	s_sethalt 5
	s_branch .LBB6_1545
.LBB6_1546:
	s_trap 2
	s_sendmsg_rtn_b32 s0, sendmsg(MSG_RTN_GET_DOORBELL)
	s_mov_b32 ttmp2, m0
	s_waitcnt lgkmcnt(0)
	s_and_b32 s0, s0, 0x3ff
	s_delay_alu instid0(SALU_CYCLE_1) | instskip(NEXT) | instid1(SALU_CYCLE_1)
	s_bitset1_b32 s0, 10
	s_mov_b32 m0, s0
	s_sendmsg sendmsg(MSG_INTERRUPT)
	s_mov_b32 m0, ttmp2
.LBB6_1547:                             ; =>This Inner Loop Header: Depth=1
	s_sethalt 5
	s_branch .LBB6_1547
.LBB6_1548:
	s_trap 2
	s_sendmsg_rtn_b32 s0, sendmsg(MSG_RTN_GET_DOORBELL)
	s_mov_b32 ttmp2, m0
	s_waitcnt lgkmcnt(0)
	s_and_b32 s0, s0, 0x3ff
	s_delay_alu instid0(SALU_CYCLE_1) | instskip(NEXT) | instid1(SALU_CYCLE_1)
	s_bitset1_b32 s0, 10
	s_mov_b32 m0, s0
	s_sendmsg sendmsg(MSG_INTERRUPT)
	s_mov_b32 m0, ttmp2
.LBB6_1549:                             ; =>This Inner Loop Header: Depth=1
	s_sethalt 5
	s_branch .LBB6_1549
.LBB6_1550:
	s_trap 2
	s_sendmsg_rtn_b32 s0, sendmsg(MSG_RTN_GET_DOORBELL)
	s_mov_b32 ttmp2, m0
	s_waitcnt lgkmcnt(0)
	s_and_b32 s0, s0, 0x3ff
	s_delay_alu instid0(SALU_CYCLE_1) | instskip(NEXT) | instid1(SALU_CYCLE_1)
	s_bitset1_b32 s0, 10
	s_mov_b32 m0, s0
	s_sendmsg sendmsg(MSG_INTERRUPT)
	s_mov_b32 m0, ttmp2
.LBB6_1551:                             ; =>This Inner Loop Header: Depth=1
	s_sethalt 5
	s_branch .LBB6_1551
.LBB6_1552:
	s_trap 2
	s_sendmsg_rtn_b32 s0, sendmsg(MSG_RTN_GET_DOORBELL)
	s_mov_b32 ttmp2, m0
	s_waitcnt lgkmcnt(0)
	s_and_b32 s0, s0, 0x3ff
	s_delay_alu instid0(SALU_CYCLE_1) | instskip(NEXT) | instid1(SALU_CYCLE_1)
	s_bitset1_b32 s0, 10
	s_mov_b32 m0, s0
	s_sendmsg sendmsg(MSG_INTERRUPT)
	s_mov_b32 m0, ttmp2
.LBB6_1553:                             ; =>This Inner Loop Header: Depth=1
	s_sethalt 5
	s_branch .LBB6_1553
.LBB6_1554:
	s_trap 2
	s_sendmsg_rtn_b32 s0, sendmsg(MSG_RTN_GET_DOORBELL)
	s_mov_b32 ttmp2, m0
	s_waitcnt lgkmcnt(0)
	s_and_b32 s0, s0, 0x3ff
	s_delay_alu instid0(SALU_CYCLE_1) | instskip(NEXT) | instid1(SALU_CYCLE_1)
	s_bitset1_b32 s0, 10
	s_mov_b32 m0, s0
	s_sendmsg sendmsg(MSG_INTERRUPT)
	s_mov_b32 m0, ttmp2
.LBB6_1555:                             ; =>This Inner Loop Header: Depth=1
	s_sethalt 5
	s_branch .LBB6_1555
.LBB6_1556:
	s_trap 2
	s_sendmsg_rtn_b32 s0, sendmsg(MSG_RTN_GET_DOORBELL)
	s_mov_b32 ttmp2, m0
	s_waitcnt lgkmcnt(0)
	s_and_b32 s0, s0, 0x3ff
	s_delay_alu instid0(SALU_CYCLE_1) | instskip(NEXT) | instid1(SALU_CYCLE_1)
	s_bitset1_b32 s0, 10
	s_mov_b32 m0, s0
	s_sendmsg sendmsg(MSG_INTERRUPT)
	s_mov_b32 m0, ttmp2
.LBB6_1557:                             ; =>This Inner Loop Header: Depth=1
	s_sethalt 5
	s_branch .LBB6_1557
.LBB6_1558:
	s_trap 2
	s_sendmsg_rtn_b32 s0, sendmsg(MSG_RTN_GET_DOORBELL)
	s_mov_b32 ttmp2, m0
	s_waitcnt lgkmcnt(0)
	s_and_b32 s0, s0, 0x3ff
	s_delay_alu instid0(SALU_CYCLE_1) | instskip(NEXT) | instid1(SALU_CYCLE_1)
	s_bitset1_b32 s0, 10
	s_mov_b32 m0, s0
	s_sendmsg sendmsg(MSG_INTERRUPT)
	s_mov_b32 m0, ttmp2
.LBB6_1559:                             ; =>This Inner Loop Header: Depth=1
	s_sethalt 5
	s_branch .LBB6_1559
.LBB6_1560:
	s_trap 2
	s_sendmsg_rtn_b32 s0, sendmsg(MSG_RTN_GET_DOORBELL)
	s_mov_b32 ttmp2, m0
	s_waitcnt lgkmcnt(0)
	s_and_b32 s0, s0, 0x3ff
	s_delay_alu instid0(SALU_CYCLE_1) | instskip(NEXT) | instid1(SALU_CYCLE_1)
	s_bitset1_b32 s0, 10
	s_mov_b32 m0, s0
	s_sendmsg sendmsg(MSG_INTERRUPT)
	s_mov_b32 m0, ttmp2
.LBB6_1561:                             ; =>This Inner Loop Header: Depth=1
	s_sethalt 5
	s_branch .LBB6_1561
.LBB6_1562:
	s_trap 2
	s_sendmsg_rtn_b32 s0, sendmsg(MSG_RTN_GET_DOORBELL)
	s_mov_b32 ttmp2, m0
	s_waitcnt lgkmcnt(0)
	s_and_b32 s0, s0, 0x3ff
	s_delay_alu instid0(SALU_CYCLE_1) | instskip(NEXT) | instid1(SALU_CYCLE_1)
	s_bitset1_b32 s0, 10
	s_mov_b32 m0, s0
	s_sendmsg sendmsg(MSG_INTERRUPT)
	s_mov_b32 m0, ttmp2
.LBB6_1563:                             ; =>This Inner Loop Header: Depth=1
	s_sethalt 5
	s_branch .LBB6_1563
.LBB6_1564:
	s_trap 2
	s_sendmsg_rtn_b32 s0, sendmsg(MSG_RTN_GET_DOORBELL)
	s_mov_b32 ttmp2, m0
	s_waitcnt lgkmcnt(0)
	s_and_b32 s0, s0, 0x3ff
	s_delay_alu instid0(SALU_CYCLE_1) | instskip(NEXT) | instid1(SALU_CYCLE_1)
	s_bitset1_b32 s0, 10
	s_mov_b32 m0, s0
	s_sendmsg sendmsg(MSG_INTERRUPT)
	s_mov_b32 m0, ttmp2
.LBB6_1565:                             ; =>This Inner Loop Header: Depth=1
	s_sethalt 5
	s_branch .LBB6_1565
.LBB6_1566:
	s_trap 2
	s_sendmsg_rtn_b32 s0, sendmsg(MSG_RTN_GET_DOORBELL)
	s_mov_b32 ttmp2, m0
	s_waitcnt lgkmcnt(0)
	s_and_b32 s0, s0, 0x3ff
	s_delay_alu instid0(SALU_CYCLE_1) | instskip(NEXT) | instid1(SALU_CYCLE_1)
	s_bitset1_b32 s0, 10
	s_mov_b32 m0, s0
	s_sendmsg sendmsg(MSG_INTERRUPT)
	s_mov_b32 m0, ttmp2
.LBB6_1567:                             ; =>This Inner Loop Header: Depth=1
	s_sethalt 5
	s_branch .LBB6_1567
.LBB6_1568:
	s_trap 2
	s_sendmsg_rtn_b32 s0, sendmsg(MSG_RTN_GET_DOORBELL)
	s_mov_b32 ttmp2, m0
	s_waitcnt lgkmcnt(0)
	s_and_b32 s0, s0, 0x3ff
	s_delay_alu instid0(SALU_CYCLE_1) | instskip(NEXT) | instid1(SALU_CYCLE_1)
	s_bitset1_b32 s0, 10
	s_mov_b32 m0, s0
	s_sendmsg sendmsg(MSG_INTERRUPT)
	s_mov_b32 m0, ttmp2
.LBB6_1569:                             ; =>This Inner Loop Header: Depth=1
	s_sethalt 5
	s_branch .LBB6_1569
.LBB6_1570:
	s_trap 2
	s_sendmsg_rtn_b32 s0, sendmsg(MSG_RTN_GET_DOORBELL)
	s_mov_b32 ttmp2, m0
	s_waitcnt lgkmcnt(0)
	s_and_b32 s0, s0, 0x3ff
	s_delay_alu instid0(SALU_CYCLE_1) | instskip(NEXT) | instid1(SALU_CYCLE_1)
	s_bitset1_b32 s0, 10
	s_mov_b32 m0, s0
	s_sendmsg sendmsg(MSG_INTERRUPT)
	s_mov_b32 m0, ttmp2
.LBB6_1571:                             ; =>This Inner Loop Header: Depth=1
	s_sethalt 5
	s_branch .LBB6_1571
.LBB6_1572:
	s_trap 2
	s_sendmsg_rtn_b32 s0, sendmsg(MSG_RTN_GET_DOORBELL)
	s_mov_b32 ttmp2, m0
	s_waitcnt lgkmcnt(0)
	s_and_b32 s0, s0, 0x3ff
	s_delay_alu instid0(SALU_CYCLE_1) | instskip(NEXT) | instid1(SALU_CYCLE_1)
	s_bitset1_b32 s0, 10
	s_mov_b32 m0, s0
	s_sendmsg sendmsg(MSG_INTERRUPT)
	s_mov_b32 m0, ttmp2
.LBB6_1573:                             ; =>This Inner Loop Header: Depth=1
	s_sethalt 5
	s_branch .LBB6_1573
.LBB6_1574:
	s_trap 2
	s_sendmsg_rtn_b32 s0, sendmsg(MSG_RTN_GET_DOORBELL)
	s_mov_b32 ttmp2, m0
	s_waitcnt lgkmcnt(0)
	s_and_b32 s0, s0, 0x3ff
	s_delay_alu instid0(SALU_CYCLE_1) | instskip(NEXT) | instid1(SALU_CYCLE_1)
	s_bitset1_b32 s0, 10
	s_mov_b32 m0, s0
	s_sendmsg sendmsg(MSG_INTERRUPT)
	s_mov_b32 m0, ttmp2
.LBB6_1575:                             ; =>This Inner Loop Header: Depth=1
	s_sethalt 5
	s_branch .LBB6_1575
.LBB6_1576:
	s_trap 2
	s_sendmsg_rtn_b32 s0, sendmsg(MSG_RTN_GET_DOORBELL)
	s_mov_b32 ttmp2, m0
	s_waitcnt lgkmcnt(0)
	s_and_b32 s0, s0, 0x3ff
	s_delay_alu instid0(SALU_CYCLE_1) | instskip(NEXT) | instid1(SALU_CYCLE_1)
	s_bitset1_b32 s0, 10
	s_mov_b32 m0, s0
	s_sendmsg sendmsg(MSG_INTERRUPT)
	s_mov_b32 m0, ttmp2
.LBB6_1577:                             ; =>This Inner Loop Header: Depth=1
	s_sethalt 5
	s_branch .LBB6_1577
.LBB6_1578:
	s_trap 2
	s_sendmsg_rtn_b32 s0, sendmsg(MSG_RTN_GET_DOORBELL)
	s_mov_b32 ttmp2, m0
	s_waitcnt lgkmcnt(0)
	s_and_b32 s0, s0, 0x3ff
	s_delay_alu instid0(SALU_CYCLE_1) | instskip(NEXT) | instid1(SALU_CYCLE_1)
	s_bitset1_b32 s0, 10
	s_mov_b32 m0, s0
	s_sendmsg sendmsg(MSG_INTERRUPT)
	s_mov_b32 m0, ttmp2
.LBB6_1579:                             ; =>This Inner Loop Header: Depth=1
	s_sethalt 5
	s_branch .LBB6_1579
.LBB6_1580:
	s_trap 2
	s_sendmsg_rtn_b32 s0, sendmsg(MSG_RTN_GET_DOORBELL)
	s_mov_b32 ttmp2, m0
	s_waitcnt lgkmcnt(0)
	s_and_b32 s0, s0, 0x3ff
	s_delay_alu instid0(SALU_CYCLE_1) | instskip(NEXT) | instid1(SALU_CYCLE_1)
	s_bitset1_b32 s0, 10
	s_mov_b32 m0, s0
	s_sendmsg sendmsg(MSG_INTERRUPT)
	s_mov_b32 m0, ttmp2
.LBB6_1581:                             ; =>This Inner Loop Header: Depth=1
	s_sethalt 5
	s_branch .LBB6_1581
.LBB6_1582:
	s_trap 2
	s_sendmsg_rtn_b32 s0, sendmsg(MSG_RTN_GET_DOORBELL)
	s_mov_b32 ttmp2, m0
	s_waitcnt lgkmcnt(0)
	s_and_b32 s0, s0, 0x3ff
	s_delay_alu instid0(SALU_CYCLE_1) | instskip(NEXT) | instid1(SALU_CYCLE_1)
	s_bitset1_b32 s0, 10
	s_mov_b32 m0, s0
	s_sendmsg sendmsg(MSG_INTERRUPT)
	s_mov_b32 m0, ttmp2
.LBB6_1583:                             ; =>This Inner Loop Header: Depth=1
	s_sethalt 5
	s_branch .LBB6_1583
.LBB6_1584:
	s_trap 2
	s_sendmsg_rtn_b32 s0, sendmsg(MSG_RTN_GET_DOORBELL)
	s_mov_b32 ttmp2, m0
	s_waitcnt lgkmcnt(0)
	s_and_b32 s0, s0, 0x3ff
	s_delay_alu instid0(SALU_CYCLE_1) | instskip(NEXT) | instid1(SALU_CYCLE_1)
	s_bitset1_b32 s0, 10
	s_mov_b32 m0, s0
	s_sendmsg sendmsg(MSG_INTERRUPT)
	s_mov_b32 m0, ttmp2
.LBB6_1585:                             ; =>This Inner Loop Header: Depth=1
	s_sethalt 5
	s_branch .LBB6_1585
.LBB6_1586:
	s_trap 2
	s_sendmsg_rtn_b32 s0, sendmsg(MSG_RTN_GET_DOORBELL)
	s_mov_b32 ttmp2, m0
	s_waitcnt lgkmcnt(0)
	s_and_b32 s0, s0, 0x3ff
	s_delay_alu instid0(SALU_CYCLE_1) | instskip(NEXT) | instid1(SALU_CYCLE_1)
	s_bitset1_b32 s0, 10
	s_mov_b32 m0, s0
	s_sendmsg sendmsg(MSG_INTERRUPT)
	s_mov_b32 m0, ttmp2
.LBB6_1587:                             ; =>This Inner Loop Header: Depth=1
	s_sethalt 5
	s_branch .LBB6_1587
.LBB6_1588:
	s_trap 2
	s_sendmsg_rtn_b32 s0, sendmsg(MSG_RTN_GET_DOORBELL)
	s_mov_b32 ttmp2, m0
	s_waitcnt lgkmcnt(0)
	s_and_b32 s0, s0, 0x3ff
	s_delay_alu instid0(SALU_CYCLE_1) | instskip(NEXT) | instid1(SALU_CYCLE_1)
	s_bitset1_b32 s0, 10
	s_mov_b32 m0, s0
	s_sendmsg sendmsg(MSG_INTERRUPT)
	s_mov_b32 m0, ttmp2
.LBB6_1589:                             ; =>This Inner Loop Header: Depth=1
	s_sethalt 5
	s_branch .LBB6_1589
.LBB6_1590:
	s_trap 2
	s_sendmsg_rtn_b32 s0, sendmsg(MSG_RTN_GET_DOORBELL)
	s_mov_b32 ttmp2, m0
	s_waitcnt lgkmcnt(0)
	s_and_b32 s0, s0, 0x3ff
	s_delay_alu instid0(SALU_CYCLE_1) | instskip(NEXT) | instid1(SALU_CYCLE_1)
	s_bitset1_b32 s0, 10
	s_mov_b32 m0, s0
	s_sendmsg sendmsg(MSG_INTERRUPT)
	s_mov_b32 m0, ttmp2
.LBB6_1591:                             ; =>This Inner Loop Header: Depth=1
	s_sethalt 5
	s_branch .LBB6_1591
.LBB6_1592:
	s_trap 2
	s_sendmsg_rtn_b32 s0, sendmsg(MSG_RTN_GET_DOORBELL)
	s_mov_b32 ttmp2, m0
	s_waitcnt lgkmcnt(0)
	s_and_b32 s0, s0, 0x3ff
	s_delay_alu instid0(SALU_CYCLE_1) | instskip(NEXT) | instid1(SALU_CYCLE_1)
	s_bitset1_b32 s0, 10
	s_mov_b32 m0, s0
	s_sendmsg sendmsg(MSG_INTERRUPT)
	s_mov_b32 m0, ttmp2
.LBB6_1593:                             ; =>This Inner Loop Header: Depth=1
	s_sethalt 5
	s_branch .LBB6_1593
.LBB6_1594:
	s_trap 2
	s_sendmsg_rtn_b32 s0, sendmsg(MSG_RTN_GET_DOORBELL)
	s_mov_b32 ttmp2, m0
	s_waitcnt lgkmcnt(0)
	s_and_b32 s0, s0, 0x3ff
	s_delay_alu instid0(SALU_CYCLE_1) | instskip(NEXT) | instid1(SALU_CYCLE_1)
	s_bitset1_b32 s0, 10
	s_mov_b32 m0, s0
	s_sendmsg sendmsg(MSG_INTERRUPT)
	s_mov_b32 m0, ttmp2
.LBB6_1595:                             ; =>This Inner Loop Header: Depth=1
	s_sethalt 5
	s_branch .LBB6_1595
.LBB6_1596:
	s_trap 2
	s_sendmsg_rtn_b32 s0, sendmsg(MSG_RTN_GET_DOORBELL)
	s_mov_b32 ttmp2, m0
	s_waitcnt lgkmcnt(0)
	s_and_b32 s0, s0, 0x3ff
	s_delay_alu instid0(SALU_CYCLE_1) | instskip(NEXT) | instid1(SALU_CYCLE_1)
	s_bitset1_b32 s0, 10
	s_mov_b32 m0, s0
	s_sendmsg sendmsg(MSG_INTERRUPT)
	s_mov_b32 m0, ttmp2
.LBB6_1597:                             ; =>This Inner Loop Header: Depth=1
	s_sethalt 5
	s_branch .LBB6_1597
.LBB6_1598:
	s_trap 2
	s_sendmsg_rtn_b32 s0, sendmsg(MSG_RTN_GET_DOORBELL)
	s_mov_b32 ttmp2, m0
	s_waitcnt lgkmcnt(0)
	s_and_b32 s0, s0, 0x3ff
	s_delay_alu instid0(SALU_CYCLE_1) | instskip(NEXT) | instid1(SALU_CYCLE_1)
	s_bitset1_b32 s0, 10
	s_mov_b32 m0, s0
	s_sendmsg sendmsg(MSG_INTERRUPT)
	s_mov_b32 m0, ttmp2
.LBB6_1599:                             ; =>This Inner Loop Header: Depth=1
	s_sethalt 5
	s_branch .LBB6_1599
.LBB6_1600:
	s_trap 2
	s_sendmsg_rtn_b32 s0, sendmsg(MSG_RTN_GET_DOORBELL)
	s_mov_b32 ttmp2, m0
	s_waitcnt lgkmcnt(0)
	s_and_b32 s0, s0, 0x3ff
	s_delay_alu instid0(SALU_CYCLE_1) | instskip(NEXT) | instid1(SALU_CYCLE_1)
	s_bitset1_b32 s0, 10
	s_mov_b32 m0, s0
	s_sendmsg sendmsg(MSG_INTERRUPT)
	s_mov_b32 m0, ttmp2
.LBB6_1601:                             ; =>This Inner Loop Header: Depth=1
	s_sethalt 5
	s_branch .LBB6_1601
.LBB6_1602:
	s_trap 2
	s_sendmsg_rtn_b32 s0, sendmsg(MSG_RTN_GET_DOORBELL)
	s_mov_b32 ttmp2, m0
	s_waitcnt lgkmcnt(0)
	s_and_b32 s0, s0, 0x3ff
	s_delay_alu instid0(SALU_CYCLE_1) | instskip(NEXT) | instid1(SALU_CYCLE_1)
	s_bitset1_b32 s0, 10
	s_mov_b32 m0, s0
	s_sendmsg sendmsg(MSG_INTERRUPT)
	s_mov_b32 m0, ttmp2
.LBB6_1603:                             ; =>This Inner Loop Header: Depth=1
	s_sethalt 5
	s_branch .LBB6_1603
.LBB6_1604:
	s_trap 2
	s_sendmsg_rtn_b32 s0, sendmsg(MSG_RTN_GET_DOORBELL)
	s_mov_b32 ttmp2, m0
	s_waitcnt lgkmcnt(0)
	s_and_b32 s0, s0, 0x3ff
	s_delay_alu instid0(SALU_CYCLE_1) | instskip(NEXT) | instid1(SALU_CYCLE_1)
	s_bitset1_b32 s0, 10
	s_mov_b32 m0, s0
	s_sendmsg sendmsg(MSG_INTERRUPT)
	s_mov_b32 m0, ttmp2
.LBB6_1605:                             ; =>This Inner Loop Header: Depth=1
	s_sethalt 5
	s_branch .LBB6_1605
.LBB6_1606:
	s_trap 2
	s_sendmsg_rtn_b32 s0, sendmsg(MSG_RTN_GET_DOORBELL)
	s_mov_b32 ttmp2, m0
	s_waitcnt lgkmcnt(0)
	s_and_b32 s0, s0, 0x3ff
	s_delay_alu instid0(SALU_CYCLE_1) | instskip(NEXT) | instid1(SALU_CYCLE_1)
	s_bitset1_b32 s0, 10
	s_mov_b32 m0, s0
	s_sendmsg sendmsg(MSG_INTERRUPT)
	s_mov_b32 m0, ttmp2
.LBB6_1607:                             ; =>This Inner Loop Header: Depth=1
	s_sethalt 5
	s_branch .LBB6_1607
.LBB6_1608:
	s_trap 2
	s_sendmsg_rtn_b32 s0, sendmsg(MSG_RTN_GET_DOORBELL)
	s_mov_b32 ttmp2, m0
	s_waitcnt lgkmcnt(0)
	s_and_b32 s0, s0, 0x3ff
	s_delay_alu instid0(SALU_CYCLE_1) | instskip(NEXT) | instid1(SALU_CYCLE_1)
	s_bitset1_b32 s0, 10
	s_mov_b32 m0, s0
	s_sendmsg sendmsg(MSG_INTERRUPT)
	s_mov_b32 m0, ttmp2
.LBB6_1609:                             ; =>This Inner Loop Header: Depth=1
	s_sethalt 5
	s_branch .LBB6_1609
.LBB6_1610:
	s_trap 2
	s_sendmsg_rtn_b32 s0, sendmsg(MSG_RTN_GET_DOORBELL)
	s_mov_b32 ttmp2, m0
	s_waitcnt lgkmcnt(0)
	s_and_b32 s0, s0, 0x3ff
	s_delay_alu instid0(SALU_CYCLE_1) | instskip(NEXT) | instid1(SALU_CYCLE_1)
	s_bitset1_b32 s0, 10
	s_mov_b32 m0, s0
	s_sendmsg sendmsg(MSG_INTERRUPT)
	s_mov_b32 m0, ttmp2
.LBB6_1611:                             ; =>This Inner Loop Header: Depth=1
	s_sethalt 5
	s_branch .LBB6_1611
.LBB6_1612:
	s_trap 2
	s_sendmsg_rtn_b32 s0, sendmsg(MSG_RTN_GET_DOORBELL)
	s_mov_b32 ttmp2, m0
	s_waitcnt lgkmcnt(0)
	s_and_b32 s0, s0, 0x3ff
	s_delay_alu instid0(SALU_CYCLE_1) | instskip(NEXT) | instid1(SALU_CYCLE_1)
	s_bitset1_b32 s0, 10
	s_mov_b32 m0, s0
	s_sendmsg sendmsg(MSG_INTERRUPT)
	s_mov_b32 m0, ttmp2
.LBB6_1613:                             ; =>This Inner Loop Header: Depth=1
	s_sethalt 5
	s_branch .LBB6_1613
.LBB6_1614:
	s_trap 2
	s_sendmsg_rtn_b32 s0, sendmsg(MSG_RTN_GET_DOORBELL)
	s_mov_b32 ttmp2, m0
	s_waitcnt lgkmcnt(0)
	s_and_b32 s0, s0, 0x3ff
	s_delay_alu instid0(SALU_CYCLE_1) | instskip(NEXT) | instid1(SALU_CYCLE_1)
	s_bitset1_b32 s0, 10
	s_mov_b32 m0, s0
	s_sendmsg sendmsg(MSG_INTERRUPT)
	s_mov_b32 m0, ttmp2
.LBB6_1615:                             ; =>This Inner Loop Header: Depth=1
	s_sethalt 5
	s_branch .LBB6_1615
.LBB6_1616:
	s_trap 2
	s_sendmsg_rtn_b32 s0, sendmsg(MSG_RTN_GET_DOORBELL)
	s_mov_b32 ttmp2, m0
	s_waitcnt lgkmcnt(0)
	s_and_b32 s0, s0, 0x3ff
	s_delay_alu instid0(SALU_CYCLE_1) | instskip(NEXT) | instid1(SALU_CYCLE_1)
	s_bitset1_b32 s0, 10
	s_mov_b32 m0, s0
	s_sendmsg sendmsg(MSG_INTERRUPT)
	s_mov_b32 m0, ttmp2
.LBB6_1617:                             ; =>This Inner Loop Header: Depth=1
	s_sethalt 5
	s_branch .LBB6_1617
.LBB6_1618:
	s_trap 2
	s_sendmsg_rtn_b32 s0, sendmsg(MSG_RTN_GET_DOORBELL)
	s_mov_b32 ttmp2, m0
	s_waitcnt lgkmcnt(0)
	s_and_b32 s0, s0, 0x3ff
	s_delay_alu instid0(SALU_CYCLE_1) | instskip(NEXT) | instid1(SALU_CYCLE_1)
	s_bitset1_b32 s0, 10
	s_mov_b32 m0, s0
	s_sendmsg sendmsg(MSG_INTERRUPT)
	s_mov_b32 m0, ttmp2
.LBB6_1619:                             ; =>This Inner Loop Header: Depth=1
	s_sethalt 5
	s_branch .LBB6_1619
.LBB6_1620:
	s_trap 2
	s_sendmsg_rtn_b32 s0, sendmsg(MSG_RTN_GET_DOORBELL)
	s_mov_b32 ttmp2, m0
	s_waitcnt lgkmcnt(0)
	s_and_b32 s0, s0, 0x3ff
	s_delay_alu instid0(SALU_CYCLE_1) | instskip(NEXT) | instid1(SALU_CYCLE_1)
	s_bitset1_b32 s0, 10
	s_mov_b32 m0, s0
	s_sendmsg sendmsg(MSG_INTERRUPT)
	s_mov_b32 m0, ttmp2
.LBB6_1621:                             ; =>This Inner Loop Header: Depth=1
	s_sethalt 5
	s_branch .LBB6_1621
.LBB6_1622:
	s_trap 2
	s_sendmsg_rtn_b32 s0, sendmsg(MSG_RTN_GET_DOORBELL)
	s_mov_b32 ttmp2, m0
	s_waitcnt lgkmcnt(0)
	s_and_b32 s0, s0, 0x3ff
	s_delay_alu instid0(SALU_CYCLE_1) | instskip(NEXT) | instid1(SALU_CYCLE_1)
	s_bitset1_b32 s0, 10
	s_mov_b32 m0, s0
	s_sendmsg sendmsg(MSG_INTERRUPT)
	s_mov_b32 m0, ttmp2
.LBB6_1623:                             ; =>This Inner Loop Header: Depth=1
	s_sethalt 5
	s_branch .LBB6_1623
.LBB6_1624:
	s_trap 2
	s_sendmsg_rtn_b32 s0, sendmsg(MSG_RTN_GET_DOORBELL)
	s_mov_b32 ttmp2, m0
	s_waitcnt lgkmcnt(0)
	s_and_b32 s0, s0, 0x3ff
	s_delay_alu instid0(SALU_CYCLE_1) | instskip(NEXT) | instid1(SALU_CYCLE_1)
	s_bitset1_b32 s0, 10
	s_mov_b32 m0, s0
	s_sendmsg sendmsg(MSG_INTERRUPT)
	s_mov_b32 m0, ttmp2
.LBB6_1625:                             ; =>This Inner Loop Header: Depth=1
	s_sethalt 5
	s_branch .LBB6_1625
.LBB6_1626:
	s_trap 2
	s_sendmsg_rtn_b32 s0, sendmsg(MSG_RTN_GET_DOORBELL)
	s_mov_b32 ttmp2, m0
	s_waitcnt lgkmcnt(0)
	s_and_b32 s0, s0, 0x3ff
	s_delay_alu instid0(SALU_CYCLE_1) | instskip(NEXT) | instid1(SALU_CYCLE_1)
	s_bitset1_b32 s0, 10
	s_mov_b32 m0, s0
	s_sendmsg sendmsg(MSG_INTERRUPT)
	s_mov_b32 m0, ttmp2
.LBB6_1627:                             ; =>This Inner Loop Header: Depth=1
	s_sethalt 5
	s_branch .LBB6_1627
.LBB6_1628:
	s_trap 2
	s_sendmsg_rtn_b32 s0, sendmsg(MSG_RTN_GET_DOORBELL)
	s_mov_b32 ttmp2, m0
	s_waitcnt lgkmcnt(0)
	s_and_b32 s0, s0, 0x3ff
	s_delay_alu instid0(SALU_CYCLE_1) | instskip(NEXT) | instid1(SALU_CYCLE_1)
	s_bitset1_b32 s0, 10
	s_mov_b32 m0, s0
	s_sendmsg sendmsg(MSG_INTERRUPT)
	s_mov_b32 m0, ttmp2
.LBB6_1629:                             ; =>This Inner Loop Header: Depth=1
	s_sethalt 5
	s_branch .LBB6_1629
.LBB6_1630:
	s_trap 2
	s_sendmsg_rtn_b32 s0, sendmsg(MSG_RTN_GET_DOORBELL)
	s_mov_b32 ttmp2, m0
	s_waitcnt lgkmcnt(0)
	s_and_b32 s0, s0, 0x3ff
	s_delay_alu instid0(SALU_CYCLE_1) | instskip(NEXT) | instid1(SALU_CYCLE_1)
	s_bitset1_b32 s0, 10
	s_mov_b32 m0, s0
	s_sendmsg sendmsg(MSG_INTERRUPT)
	s_mov_b32 m0, ttmp2
.LBB6_1631:                             ; =>This Inner Loop Header: Depth=1
	s_sethalt 5
	s_branch .LBB6_1631
.LBB6_1632:
	s_trap 2
	s_sendmsg_rtn_b32 s0, sendmsg(MSG_RTN_GET_DOORBELL)
	s_mov_b32 ttmp2, m0
	s_waitcnt lgkmcnt(0)
	s_and_b32 s0, s0, 0x3ff
	s_delay_alu instid0(SALU_CYCLE_1) | instskip(NEXT) | instid1(SALU_CYCLE_1)
	s_bitset1_b32 s0, 10
	s_mov_b32 m0, s0
	s_sendmsg sendmsg(MSG_INTERRUPT)
	s_mov_b32 m0, ttmp2
.LBB6_1633:                             ; =>This Inner Loop Header: Depth=1
	s_sethalt 5
	s_branch .LBB6_1633
.LBB6_1634:
	s_trap 2
	s_sendmsg_rtn_b32 s0, sendmsg(MSG_RTN_GET_DOORBELL)
	s_mov_b32 ttmp2, m0
	s_waitcnt lgkmcnt(0)
	s_and_b32 s0, s0, 0x3ff
	s_delay_alu instid0(SALU_CYCLE_1) | instskip(NEXT) | instid1(SALU_CYCLE_1)
	s_bitset1_b32 s0, 10
	s_mov_b32 m0, s0
	s_sendmsg sendmsg(MSG_INTERRUPT)
	s_mov_b32 m0, ttmp2
.LBB6_1635:                             ; =>This Inner Loop Header: Depth=1
	s_sethalt 5
	s_branch .LBB6_1635
.LBB6_1636:
	s_trap 2
	s_sendmsg_rtn_b32 s0, sendmsg(MSG_RTN_GET_DOORBELL)
	s_mov_b32 ttmp2, m0
	s_waitcnt lgkmcnt(0)
	s_and_b32 s0, s0, 0x3ff
	s_delay_alu instid0(SALU_CYCLE_1) | instskip(NEXT) | instid1(SALU_CYCLE_1)
	s_bitset1_b32 s0, 10
	s_mov_b32 m0, s0
	s_sendmsg sendmsg(MSG_INTERRUPT)
	s_mov_b32 m0, ttmp2
.LBB6_1637:                             ; =>This Inner Loop Header: Depth=1
	s_sethalt 5
	s_branch .LBB6_1637
.LBB6_1638:
	s_trap 2
	s_sendmsg_rtn_b32 s0, sendmsg(MSG_RTN_GET_DOORBELL)
	s_mov_b32 ttmp2, m0
	s_waitcnt lgkmcnt(0)
	s_and_b32 s0, s0, 0x3ff
	s_delay_alu instid0(SALU_CYCLE_1) | instskip(NEXT) | instid1(SALU_CYCLE_1)
	s_bitset1_b32 s0, 10
	s_mov_b32 m0, s0
	s_sendmsg sendmsg(MSG_INTERRUPT)
	s_mov_b32 m0, ttmp2
.LBB6_1639:                             ; =>This Inner Loop Header: Depth=1
	s_sethalt 5
	s_branch .LBB6_1639
.LBB6_1640:
	s_trap 2
	s_sendmsg_rtn_b32 s0, sendmsg(MSG_RTN_GET_DOORBELL)
	s_mov_b32 ttmp2, m0
	s_waitcnt lgkmcnt(0)
	s_and_b32 s0, s0, 0x3ff
	s_delay_alu instid0(SALU_CYCLE_1) | instskip(NEXT) | instid1(SALU_CYCLE_1)
	s_bitset1_b32 s0, 10
	s_mov_b32 m0, s0
	s_sendmsg sendmsg(MSG_INTERRUPT)
	s_mov_b32 m0, ttmp2
.LBB6_1641:                             ; =>This Inner Loop Header: Depth=1
	s_sethalt 5
	s_branch .LBB6_1641
.LBB6_1642:
	s_trap 2
	s_sendmsg_rtn_b32 s0, sendmsg(MSG_RTN_GET_DOORBELL)
	s_mov_b32 ttmp2, m0
	s_waitcnt lgkmcnt(0)
	s_and_b32 s0, s0, 0x3ff
	s_delay_alu instid0(SALU_CYCLE_1) | instskip(NEXT) | instid1(SALU_CYCLE_1)
	s_bitset1_b32 s0, 10
	s_mov_b32 m0, s0
	s_sendmsg sendmsg(MSG_INTERRUPT)
	s_mov_b32 m0, ttmp2
.LBB6_1643:                             ; =>This Inner Loop Header: Depth=1
	s_sethalt 5
	s_branch .LBB6_1643
.LBB6_1644:
	s_trap 2
	s_sendmsg_rtn_b32 s0, sendmsg(MSG_RTN_GET_DOORBELL)
	s_mov_b32 ttmp2, m0
	s_waitcnt lgkmcnt(0)
	s_and_b32 s0, s0, 0x3ff
	s_delay_alu instid0(SALU_CYCLE_1) | instskip(NEXT) | instid1(SALU_CYCLE_1)
	s_bitset1_b32 s0, 10
	s_mov_b32 m0, s0
	s_sendmsg sendmsg(MSG_INTERRUPT)
	s_mov_b32 m0, ttmp2
.LBB6_1645:                             ; =>This Inner Loop Header: Depth=1
	s_sethalt 5
	s_branch .LBB6_1645
.LBB6_1646:
	s_trap 2
	s_sendmsg_rtn_b32 s0, sendmsg(MSG_RTN_GET_DOORBELL)
	s_mov_b32 ttmp2, m0
	s_waitcnt lgkmcnt(0)
	s_and_b32 s0, s0, 0x3ff
	s_delay_alu instid0(SALU_CYCLE_1) | instskip(NEXT) | instid1(SALU_CYCLE_1)
	s_bitset1_b32 s0, 10
	s_mov_b32 m0, s0
	s_sendmsg sendmsg(MSG_INTERRUPT)
	s_mov_b32 m0, ttmp2
.LBB6_1647:                             ; =>This Inner Loop Header: Depth=1
	s_sethalt 5
	s_branch .LBB6_1647
.LBB6_1648:
	s_trap 2
	s_sendmsg_rtn_b32 s0, sendmsg(MSG_RTN_GET_DOORBELL)
	s_mov_b32 ttmp2, m0
	s_waitcnt lgkmcnt(0)
	s_and_b32 s0, s0, 0x3ff
	s_delay_alu instid0(SALU_CYCLE_1) | instskip(NEXT) | instid1(SALU_CYCLE_1)
	s_bitset1_b32 s0, 10
	s_mov_b32 m0, s0
	s_sendmsg sendmsg(MSG_INTERRUPT)
	s_mov_b32 m0, ttmp2
.LBB6_1649:                             ; =>This Inner Loop Header: Depth=1
	s_sethalt 5
	s_branch .LBB6_1649
.LBB6_1650:
	s_trap 2
	s_sendmsg_rtn_b32 s0, sendmsg(MSG_RTN_GET_DOORBELL)
	s_mov_b32 ttmp2, m0
	s_waitcnt lgkmcnt(0)
	s_and_b32 s0, s0, 0x3ff
	s_delay_alu instid0(SALU_CYCLE_1) | instskip(NEXT) | instid1(SALU_CYCLE_1)
	s_bitset1_b32 s0, 10
	s_mov_b32 m0, s0
	s_sendmsg sendmsg(MSG_INTERRUPT)
	s_mov_b32 m0, ttmp2
.LBB6_1651:                             ; =>This Inner Loop Header: Depth=1
	s_sethalt 5
	s_branch .LBB6_1651
.LBB6_1652:
	s_trap 2
	s_sendmsg_rtn_b32 s0, sendmsg(MSG_RTN_GET_DOORBELL)
	s_mov_b32 ttmp2, m0
	s_waitcnt lgkmcnt(0)
	s_and_b32 s0, s0, 0x3ff
	s_delay_alu instid0(SALU_CYCLE_1) | instskip(NEXT) | instid1(SALU_CYCLE_1)
	s_bitset1_b32 s0, 10
	s_mov_b32 m0, s0
	s_sendmsg sendmsg(MSG_INTERRUPT)
	s_mov_b32 m0, ttmp2
.LBB6_1653:                             ; =>This Inner Loop Header: Depth=1
	s_sethalt 5
	s_branch .LBB6_1653
.LBB6_1654:
	s_trap 2
	s_sendmsg_rtn_b32 s0, sendmsg(MSG_RTN_GET_DOORBELL)
	s_mov_b32 ttmp2, m0
	s_waitcnt lgkmcnt(0)
	s_and_b32 s0, s0, 0x3ff
	s_delay_alu instid0(SALU_CYCLE_1) | instskip(NEXT) | instid1(SALU_CYCLE_1)
	s_bitset1_b32 s0, 10
	s_mov_b32 m0, s0
	s_sendmsg sendmsg(MSG_INTERRUPT)
	s_mov_b32 m0, ttmp2
.LBB6_1655:                             ; =>This Inner Loop Header: Depth=1
	s_sethalt 5
	s_branch .LBB6_1655
.LBB6_1656:
	s_trap 2
	s_sendmsg_rtn_b32 s0, sendmsg(MSG_RTN_GET_DOORBELL)
	s_mov_b32 ttmp2, m0
	s_waitcnt lgkmcnt(0)
	s_and_b32 s0, s0, 0x3ff
	s_delay_alu instid0(SALU_CYCLE_1) | instskip(NEXT) | instid1(SALU_CYCLE_1)
	s_bitset1_b32 s0, 10
	s_mov_b32 m0, s0
	s_sendmsg sendmsg(MSG_INTERRUPT)
	s_mov_b32 m0, ttmp2
.LBB6_1657:                             ; =>This Inner Loop Header: Depth=1
	s_sethalt 5
	s_branch .LBB6_1657
.LBB6_1658:
	s_trap 2
	s_sendmsg_rtn_b32 s0, sendmsg(MSG_RTN_GET_DOORBELL)
	s_mov_b32 ttmp2, m0
	s_waitcnt lgkmcnt(0)
	s_and_b32 s0, s0, 0x3ff
	s_delay_alu instid0(SALU_CYCLE_1) | instskip(NEXT) | instid1(SALU_CYCLE_1)
	s_bitset1_b32 s0, 10
	s_mov_b32 m0, s0
	s_sendmsg sendmsg(MSG_INTERRUPT)
	s_mov_b32 m0, ttmp2
.LBB6_1659:                             ; =>This Inner Loop Header: Depth=1
	s_sethalt 5
	s_branch .LBB6_1659
.LBB6_1660:
	s_trap 2
	s_sendmsg_rtn_b32 s0, sendmsg(MSG_RTN_GET_DOORBELL)
	s_mov_b32 ttmp2, m0
	s_waitcnt lgkmcnt(0)
	s_and_b32 s0, s0, 0x3ff
	s_delay_alu instid0(SALU_CYCLE_1) | instskip(NEXT) | instid1(SALU_CYCLE_1)
	s_bitset1_b32 s0, 10
	s_mov_b32 m0, s0
	s_sendmsg sendmsg(MSG_INTERRUPT)
	s_mov_b32 m0, ttmp2
.LBB6_1661:                             ; =>This Inner Loop Header: Depth=1
	s_sethalt 5
	s_branch .LBB6_1661
.LBB6_1662:
	s_trap 2
	s_sendmsg_rtn_b32 s0, sendmsg(MSG_RTN_GET_DOORBELL)
	s_mov_b32 ttmp2, m0
	s_waitcnt lgkmcnt(0)
	s_and_b32 s0, s0, 0x3ff
	s_delay_alu instid0(SALU_CYCLE_1) | instskip(NEXT) | instid1(SALU_CYCLE_1)
	s_bitset1_b32 s0, 10
	s_mov_b32 m0, s0
	s_sendmsg sendmsg(MSG_INTERRUPT)
	s_mov_b32 m0, ttmp2
.LBB6_1663:                             ; =>This Inner Loop Header: Depth=1
	s_sethalt 5
	s_branch .LBB6_1663
.LBB6_1664:
	s_trap 2
	s_sendmsg_rtn_b32 s0, sendmsg(MSG_RTN_GET_DOORBELL)
	s_mov_b32 ttmp2, m0
	s_waitcnt lgkmcnt(0)
	s_and_b32 s0, s0, 0x3ff
	s_delay_alu instid0(SALU_CYCLE_1) | instskip(NEXT) | instid1(SALU_CYCLE_1)
	s_bitset1_b32 s0, 10
	s_mov_b32 m0, s0
	s_sendmsg sendmsg(MSG_INTERRUPT)
	s_mov_b32 m0, ttmp2
.LBB6_1665:                             ; =>This Inner Loop Header: Depth=1
	s_sethalt 5
	s_branch .LBB6_1665
.LBB6_1666:
	s_trap 2
	s_sendmsg_rtn_b32 s0, sendmsg(MSG_RTN_GET_DOORBELL)
	s_mov_b32 ttmp2, m0
	s_waitcnt lgkmcnt(0)
	s_and_b32 s0, s0, 0x3ff
	s_delay_alu instid0(SALU_CYCLE_1) | instskip(NEXT) | instid1(SALU_CYCLE_1)
	s_bitset1_b32 s0, 10
	s_mov_b32 m0, s0
	s_sendmsg sendmsg(MSG_INTERRUPT)
	s_mov_b32 m0, ttmp2
.LBB6_1667:                             ; =>This Inner Loop Header: Depth=1
	s_sethalt 5
	s_branch .LBB6_1667
.LBB6_1668:
	s_trap 2
	s_sendmsg_rtn_b32 s0, sendmsg(MSG_RTN_GET_DOORBELL)
	s_mov_b32 ttmp2, m0
	s_waitcnt lgkmcnt(0)
	s_and_b32 s0, s0, 0x3ff
	s_delay_alu instid0(SALU_CYCLE_1) | instskip(NEXT) | instid1(SALU_CYCLE_1)
	s_bitset1_b32 s0, 10
	s_mov_b32 m0, s0
	s_sendmsg sendmsg(MSG_INTERRUPT)
	s_mov_b32 m0, ttmp2
.LBB6_1669:                             ; =>This Inner Loop Header: Depth=1
	s_sethalt 5
	s_branch .LBB6_1669
.LBB6_1670:
	s_trap 2
	s_sendmsg_rtn_b32 s0, sendmsg(MSG_RTN_GET_DOORBELL)
	s_mov_b32 ttmp2, m0
	s_waitcnt lgkmcnt(0)
	s_and_b32 s0, s0, 0x3ff
	s_delay_alu instid0(SALU_CYCLE_1) | instskip(NEXT) | instid1(SALU_CYCLE_1)
	s_bitset1_b32 s0, 10
	s_mov_b32 m0, s0
	s_sendmsg sendmsg(MSG_INTERRUPT)
	s_mov_b32 m0, ttmp2
.LBB6_1671:                             ; =>This Inner Loop Header: Depth=1
	s_sethalt 5
	s_branch .LBB6_1671
.LBB6_1672:
	s_trap 2
	s_sendmsg_rtn_b32 s0, sendmsg(MSG_RTN_GET_DOORBELL)
	s_mov_b32 ttmp2, m0
	s_waitcnt lgkmcnt(0)
	s_and_b32 s0, s0, 0x3ff
	s_delay_alu instid0(SALU_CYCLE_1) | instskip(NEXT) | instid1(SALU_CYCLE_1)
	s_bitset1_b32 s0, 10
	s_mov_b32 m0, s0
	s_sendmsg sendmsg(MSG_INTERRUPT)
	s_mov_b32 m0, ttmp2
.LBB6_1673:                             ; =>This Inner Loop Header: Depth=1
	s_sethalt 5
	s_branch .LBB6_1673
.LBB6_1674:
	s_trap 2
	s_sendmsg_rtn_b32 s0, sendmsg(MSG_RTN_GET_DOORBELL)
	s_mov_b32 ttmp2, m0
	s_waitcnt lgkmcnt(0)
	s_and_b32 s0, s0, 0x3ff
	s_delay_alu instid0(SALU_CYCLE_1) | instskip(NEXT) | instid1(SALU_CYCLE_1)
	s_bitset1_b32 s0, 10
	s_mov_b32 m0, s0
	s_sendmsg sendmsg(MSG_INTERRUPT)
	s_mov_b32 m0, ttmp2
.LBB6_1675:                             ; =>This Inner Loop Header: Depth=1
	s_sethalt 5
	s_branch .LBB6_1675
.LBB6_1676:
	s_trap 2
	s_sendmsg_rtn_b32 s0, sendmsg(MSG_RTN_GET_DOORBELL)
	s_mov_b32 ttmp2, m0
	s_waitcnt lgkmcnt(0)
	s_and_b32 s0, s0, 0x3ff
	s_delay_alu instid0(SALU_CYCLE_1) | instskip(NEXT) | instid1(SALU_CYCLE_1)
	s_bitset1_b32 s0, 10
	s_mov_b32 m0, s0
	s_sendmsg sendmsg(MSG_INTERRUPT)
	s_mov_b32 m0, ttmp2
.LBB6_1677:                             ; =>This Inner Loop Header: Depth=1
	s_sethalt 5
	s_branch .LBB6_1677
.LBB6_1678:
	s_trap 2
	s_sendmsg_rtn_b32 s0, sendmsg(MSG_RTN_GET_DOORBELL)
	s_mov_b32 ttmp2, m0
	s_waitcnt lgkmcnt(0)
	s_and_b32 s0, s0, 0x3ff
	s_delay_alu instid0(SALU_CYCLE_1) | instskip(NEXT) | instid1(SALU_CYCLE_1)
	s_bitset1_b32 s0, 10
	s_mov_b32 m0, s0
	s_sendmsg sendmsg(MSG_INTERRUPT)
	s_mov_b32 m0, ttmp2
.LBB6_1679:                             ; =>This Inner Loop Header: Depth=1
	s_sethalt 5
	s_branch .LBB6_1679
.LBB6_1680:
	s_trap 2
	s_sendmsg_rtn_b32 s0, sendmsg(MSG_RTN_GET_DOORBELL)
	s_mov_b32 ttmp2, m0
	s_waitcnt lgkmcnt(0)
	s_and_b32 s0, s0, 0x3ff
	s_delay_alu instid0(SALU_CYCLE_1) | instskip(NEXT) | instid1(SALU_CYCLE_1)
	s_bitset1_b32 s0, 10
	s_mov_b32 m0, s0
	s_sendmsg sendmsg(MSG_INTERRUPT)
	s_mov_b32 m0, ttmp2
.LBB6_1681:                             ; =>This Inner Loop Header: Depth=1
	s_sethalt 5
	s_branch .LBB6_1681
.LBB6_1682:
	s_trap 2
	s_sendmsg_rtn_b32 s0, sendmsg(MSG_RTN_GET_DOORBELL)
	s_mov_b32 ttmp2, m0
	s_waitcnt lgkmcnt(0)
	s_and_b32 s0, s0, 0x3ff
	s_delay_alu instid0(SALU_CYCLE_1) | instskip(NEXT) | instid1(SALU_CYCLE_1)
	s_bitset1_b32 s0, 10
	s_mov_b32 m0, s0
	s_sendmsg sendmsg(MSG_INTERRUPT)
	s_mov_b32 m0, ttmp2
.LBB6_1683:                             ; =>This Inner Loop Header: Depth=1
	s_sethalt 5
	s_branch .LBB6_1683
.LBB6_1684:
	s_trap 2
	s_sendmsg_rtn_b32 s0, sendmsg(MSG_RTN_GET_DOORBELL)
	s_mov_b32 ttmp2, m0
	s_waitcnt lgkmcnt(0)
	s_and_b32 s0, s0, 0x3ff
	s_delay_alu instid0(SALU_CYCLE_1) | instskip(NEXT) | instid1(SALU_CYCLE_1)
	s_bitset1_b32 s0, 10
	s_mov_b32 m0, s0
	s_sendmsg sendmsg(MSG_INTERRUPT)
	s_mov_b32 m0, ttmp2
.LBB6_1685:                             ; =>This Inner Loop Header: Depth=1
	s_sethalt 5
	s_branch .LBB6_1685
.LBB6_1686:
	s_trap 2
	s_sendmsg_rtn_b32 s0, sendmsg(MSG_RTN_GET_DOORBELL)
	s_mov_b32 ttmp2, m0
	s_waitcnt lgkmcnt(0)
	s_and_b32 s0, s0, 0x3ff
	s_delay_alu instid0(SALU_CYCLE_1) | instskip(NEXT) | instid1(SALU_CYCLE_1)
	s_bitset1_b32 s0, 10
	s_mov_b32 m0, s0
	s_sendmsg sendmsg(MSG_INTERRUPT)
	s_mov_b32 m0, ttmp2
.LBB6_1687:                             ; =>This Inner Loop Header: Depth=1
	s_sethalt 5
	s_branch .LBB6_1687
.LBB6_1688:
	s_trap 2
	s_sendmsg_rtn_b32 s0, sendmsg(MSG_RTN_GET_DOORBELL)
	s_mov_b32 ttmp2, m0
	s_waitcnt lgkmcnt(0)
	s_and_b32 s0, s0, 0x3ff
	s_delay_alu instid0(SALU_CYCLE_1) | instskip(NEXT) | instid1(SALU_CYCLE_1)
	s_bitset1_b32 s0, 10
	s_mov_b32 m0, s0
	s_sendmsg sendmsg(MSG_INTERRUPT)
	s_mov_b32 m0, ttmp2
.LBB6_1689:                             ; =>This Inner Loop Header: Depth=1
	s_sethalt 5
	s_branch .LBB6_1689
.LBB6_1690:
	s_trap 2
	s_sendmsg_rtn_b32 s0, sendmsg(MSG_RTN_GET_DOORBELL)
	s_mov_b32 ttmp2, m0
	s_waitcnt lgkmcnt(0)
	s_and_b32 s0, s0, 0x3ff
	s_delay_alu instid0(SALU_CYCLE_1) | instskip(NEXT) | instid1(SALU_CYCLE_1)
	s_bitset1_b32 s0, 10
	s_mov_b32 m0, s0
	s_sendmsg sendmsg(MSG_INTERRUPT)
	s_mov_b32 m0, ttmp2
.LBB6_1691:                             ; =>This Inner Loop Header: Depth=1
	s_sethalt 5
	s_branch .LBB6_1691
.LBB6_1692:
	s_or_b32 exec_lo, exec_lo, s4
	s_and_saveexec_b32 s4, s5
	s_delay_alu instid0(SALU_CYCLE_1)
	s_xor_b32 s4, exec_lo, s4
	s_cbranch_execz .LBB6_1694
; %bb.1693:
	v_mov_b32_e32 v0, 1
	ds_store_b32 v0, v0
	s_cbranch_execnz .LBB6_1786
.LBB6_1694:
	s_or_b32 exec_lo, exec_lo, s3
	;;#ASMSTART
	s_wakeup
	;;#ASMEND
.LBB6_1695:
	s_or_b32 exec_lo, exec_lo, s2
.LBB6_1696:
	s_and_not1_saveexec_b32 s1, s1
	s_cbranch_execz .LBB6_1698
; %bb.1697:
	s_waitcnt lgkmcnt(0)
	s_waitcnt_vscnt null, 0x0
	buffer_gl1_inv
	buffer_gl0_inv
	s_barrier
.LBB6_1698:
	s_or_b32 exec_lo, exec_lo, s0
.LBB6_1699:
	s_and_not1_saveexec_b32 s21, s26
	s_cbranch_execz .LBB6_1701
; %bb.1700:
	s_getpc_b64 s[0:1]
	s_add_u32 s0, s0, __PRETTY_FUNCTION__._ZN10PrimitivesIm14FuncSumPostDivImE12FanSymmetricILi1EELi0E11ProtoSimpleILi2ELi2ELi0ELi4ELi0ELi0EELi0ELb0ELi0ELi0ELi0EEC2EiiPKiS8_PKvPvmhhhP15ncclDevWorkCollP14ncclDevWorkP2pii@rel32@lo+4
	s_addc_u32 s1, s1, __PRETTY_FUNCTION__._ZN10PrimitivesIm14FuncSumPostDivImE12FanSymmetricILi1EELi0E11ProtoSimpleILi2ELi2ELi0ELi4ELi0ELi0EELi0ELb0ELi0ELi0ELi0EEC2EiiPKiS8_PKvPvmhhhP15ncclDevWorkCollP14ncclDevWorkP2pii@rel32@hi+12
	s_delay_alu instid0(SALU_CYCLE_1) | instskip(SKIP_3) | instid1(SALU_CYCLE_1)
	v_dual_mov_b32 v0, s0 :: v_dual_mov_b32 v1, s1
	s_getpc_b64 s[2:3]
	s_add_u32 s2, s2, __assert_fail@rel32@lo+4
	s_addc_u32 s3, s3, __assert_fail@rel32@hi+12
	s_swappc_b64 s[30:31], s[2:3]
	; divergent unreachable
.LBB6_1701:
	s_or_b32 exec_lo, exec_lo, s21
	s_clause 0x10
	scratch_load_b32 v72, off, s33
	scratch_load_b32 v63, off, s33 offset:4
	scratch_load_b32 v62, off, s33 offset:8
	;; [unrolled: 1-line block ×16, first 2 shown]
	v_readlane_b32 s30, v73, 13
	v_readlane_b32 s31, v73, 14
	;; [unrolled: 1-line block ×16, first 2 shown]
	s_or_saveexec_b32 s1, -1
	s_clause 0x1
	scratch_load_b32 v73, off, s33 offset:68
	scratch_load_b32 v74, off, s33 offset:72
	s_mov_b32 exec_lo, s1
	s_addk_i32 s32, 0xffb0
	s_mov_b32 s33, s0
	s_waitcnt vmcnt(0) lgkmcnt(0)
	s_setpc_b64 s[30:31]
.LBB6_1702:
	s_trap 2
	s_sendmsg_rtn_b32 s0, sendmsg(MSG_RTN_GET_DOORBELL)
	s_mov_b32 ttmp2, m0
	s_waitcnt lgkmcnt(0)
	s_and_b32 s0, s0, 0x3ff
	s_delay_alu instid0(SALU_CYCLE_1) | instskip(NEXT) | instid1(SALU_CYCLE_1)
	s_bitset1_b32 s0, 10
	s_mov_b32 m0, s0
	s_sendmsg sendmsg(MSG_INTERRUPT)
	s_mov_b32 m0, ttmp2
.LBB6_1703:                             ; =>This Inner Loop Header: Depth=1
	s_sethalt 5
	s_branch .LBB6_1703
.LBB6_1704:
	s_trap 2
	s_sendmsg_rtn_b32 s0, sendmsg(MSG_RTN_GET_DOORBELL)
	s_mov_b32 ttmp2, m0
	s_waitcnt lgkmcnt(0)
	s_and_b32 s0, s0, 0x3ff
	s_delay_alu instid0(SALU_CYCLE_1) | instskip(NEXT) | instid1(SALU_CYCLE_1)
	s_bitset1_b32 s0, 10
	s_mov_b32 m0, s0
	s_sendmsg sendmsg(MSG_INTERRUPT)
	s_mov_b32 m0, ttmp2
.LBB6_1705:                             ; =>This Inner Loop Header: Depth=1
	s_sethalt 5
	s_branch .LBB6_1705
.LBB6_1706:
	s_trap 2
	s_sendmsg_rtn_b32 s0, sendmsg(MSG_RTN_GET_DOORBELL)
	s_mov_b32 ttmp2, m0
	s_waitcnt lgkmcnt(0)
	s_and_b32 s0, s0, 0x3ff
	s_delay_alu instid0(SALU_CYCLE_1) | instskip(NEXT) | instid1(SALU_CYCLE_1)
	s_bitset1_b32 s0, 10
	s_mov_b32 m0, s0
	s_sendmsg sendmsg(MSG_INTERRUPT)
	s_mov_b32 m0, ttmp2
.LBB6_1707:                             ; =>This Inner Loop Header: Depth=1
	s_sethalt 5
	s_branch .LBB6_1707
.LBB6_1708:
	s_trap 2
	s_sendmsg_rtn_b32 s0, sendmsg(MSG_RTN_GET_DOORBELL)
	s_mov_b32 ttmp2, m0
	s_waitcnt lgkmcnt(0)
	s_and_b32 s0, s0, 0x3ff
	s_delay_alu instid0(SALU_CYCLE_1) | instskip(NEXT) | instid1(SALU_CYCLE_1)
	s_bitset1_b32 s0, 10
	s_mov_b32 m0, s0
	s_sendmsg sendmsg(MSG_INTERRUPT)
	s_mov_b32 m0, ttmp2
.LBB6_1709:                             ; =>This Inner Loop Header: Depth=1
	s_sethalt 5
	s_branch .LBB6_1709
.LBB6_1710:
	s_trap 2
	s_sendmsg_rtn_b32 s0, sendmsg(MSG_RTN_GET_DOORBELL)
	s_mov_b32 ttmp2, m0
	s_waitcnt lgkmcnt(0)
	s_and_b32 s0, s0, 0x3ff
	s_delay_alu instid0(SALU_CYCLE_1) | instskip(NEXT) | instid1(SALU_CYCLE_1)
	s_bitset1_b32 s0, 10
	s_mov_b32 m0, s0
	s_sendmsg sendmsg(MSG_INTERRUPT)
	s_mov_b32 m0, ttmp2
.LBB6_1711:                             ; =>This Inner Loop Header: Depth=1
	s_sethalt 5
	s_branch .LBB6_1711
.LBB6_1712:
	s_trap 2
	s_sendmsg_rtn_b32 s0, sendmsg(MSG_RTN_GET_DOORBELL)
	s_mov_b32 ttmp2, m0
	s_waitcnt lgkmcnt(0)
	s_and_b32 s0, s0, 0x3ff
	s_delay_alu instid0(SALU_CYCLE_1) | instskip(NEXT) | instid1(SALU_CYCLE_1)
	s_bitset1_b32 s0, 10
	s_mov_b32 m0, s0
	s_sendmsg sendmsg(MSG_INTERRUPT)
	s_mov_b32 m0, ttmp2
.LBB6_1713:                             ; =>This Inner Loop Header: Depth=1
	s_sethalt 5
	s_branch .LBB6_1713
.LBB6_1714:
	s_trap 2
	s_sendmsg_rtn_b32 s0, sendmsg(MSG_RTN_GET_DOORBELL)
	s_mov_b32 ttmp2, m0
	s_waitcnt lgkmcnt(0)
	s_and_b32 s0, s0, 0x3ff
	s_delay_alu instid0(SALU_CYCLE_1) | instskip(NEXT) | instid1(SALU_CYCLE_1)
	s_bitset1_b32 s0, 10
	s_mov_b32 m0, s0
	s_sendmsg sendmsg(MSG_INTERRUPT)
	s_mov_b32 m0, ttmp2
.LBB6_1715:                             ; =>This Inner Loop Header: Depth=1
	s_sethalt 5
	s_branch .LBB6_1715
.LBB6_1716:
	s_trap 2
	s_sendmsg_rtn_b32 s0, sendmsg(MSG_RTN_GET_DOORBELL)
	s_mov_b32 ttmp2, m0
	s_waitcnt lgkmcnt(0)
	s_and_b32 s0, s0, 0x3ff
	s_delay_alu instid0(SALU_CYCLE_1) | instskip(NEXT) | instid1(SALU_CYCLE_1)
	s_bitset1_b32 s0, 10
	s_mov_b32 m0, s0
	s_sendmsg sendmsg(MSG_INTERRUPT)
	s_mov_b32 m0, ttmp2
.LBB6_1717:                             ; =>This Inner Loop Header: Depth=1
	s_sethalt 5
	s_branch .LBB6_1717
.LBB6_1718:
	s_trap 2
	s_sendmsg_rtn_b32 s0, sendmsg(MSG_RTN_GET_DOORBELL)
	s_mov_b32 ttmp2, m0
	s_waitcnt lgkmcnt(0)
	s_and_b32 s0, s0, 0x3ff
	s_delay_alu instid0(SALU_CYCLE_1) | instskip(NEXT) | instid1(SALU_CYCLE_1)
	s_bitset1_b32 s0, 10
	s_mov_b32 m0, s0
	s_sendmsg sendmsg(MSG_INTERRUPT)
	s_mov_b32 m0, ttmp2
.LBB6_1719:                             ; =>This Inner Loop Header: Depth=1
	s_sethalt 5
	s_branch .LBB6_1719
.LBB6_1720:
	s_trap 2
	s_sendmsg_rtn_b32 s0, sendmsg(MSG_RTN_GET_DOORBELL)
	s_mov_b32 ttmp2, m0
	s_waitcnt lgkmcnt(0)
	s_and_b32 s0, s0, 0x3ff
	s_delay_alu instid0(SALU_CYCLE_1) | instskip(NEXT) | instid1(SALU_CYCLE_1)
	s_bitset1_b32 s0, 10
	s_mov_b32 m0, s0
	s_sendmsg sendmsg(MSG_INTERRUPT)
	s_mov_b32 m0, ttmp2
.LBB6_1721:                             ; =>This Inner Loop Header: Depth=1
	s_sethalt 5
	s_branch .LBB6_1721
.LBB6_1722:
	s_trap 2
	s_sendmsg_rtn_b32 s0, sendmsg(MSG_RTN_GET_DOORBELL)
	s_mov_b32 ttmp2, m0
	s_waitcnt lgkmcnt(0)
	s_and_b32 s0, s0, 0x3ff
	s_delay_alu instid0(SALU_CYCLE_1) | instskip(NEXT) | instid1(SALU_CYCLE_1)
	s_bitset1_b32 s0, 10
	s_mov_b32 m0, s0
	s_sendmsg sendmsg(MSG_INTERRUPT)
	s_mov_b32 m0, ttmp2
.LBB6_1723:                             ; =>This Inner Loop Header: Depth=1
	s_sethalt 5
	s_branch .LBB6_1723
.LBB6_1724:
	s_trap 2
	s_sendmsg_rtn_b32 s0, sendmsg(MSG_RTN_GET_DOORBELL)
	s_mov_b32 ttmp2, m0
	s_waitcnt lgkmcnt(0)
	s_and_b32 s0, s0, 0x3ff
	s_delay_alu instid0(SALU_CYCLE_1) | instskip(NEXT) | instid1(SALU_CYCLE_1)
	s_bitset1_b32 s0, 10
	s_mov_b32 m0, s0
	s_sendmsg sendmsg(MSG_INTERRUPT)
	s_mov_b32 m0, ttmp2
.LBB6_1725:                             ; =>This Inner Loop Header: Depth=1
	s_sethalt 5
	s_branch .LBB6_1725
.LBB6_1726:
	s_trap 2
	s_sendmsg_rtn_b32 s0, sendmsg(MSG_RTN_GET_DOORBELL)
	s_mov_b32 ttmp2, m0
	s_waitcnt lgkmcnt(0)
	s_and_b32 s0, s0, 0x3ff
	s_delay_alu instid0(SALU_CYCLE_1) | instskip(NEXT) | instid1(SALU_CYCLE_1)
	s_bitset1_b32 s0, 10
	s_mov_b32 m0, s0
	s_sendmsg sendmsg(MSG_INTERRUPT)
	s_mov_b32 m0, ttmp2
.LBB6_1727:                             ; =>This Inner Loop Header: Depth=1
	s_sethalt 5
	s_branch .LBB6_1727
.LBB6_1728:
	s_trap 2
	s_sendmsg_rtn_b32 s0, sendmsg(MSG_RTN_GET_DOORBELL)
	s_mov_b32 ttmp2, m0
	s_waitcnt lgkmcnt(0)
	s_and_b32 s0, s0, 0x3ff
	s_delay_alu instid0(SALU_CYCLE_1) | instskip(NEXT) | instid1(SALU_CYCLE_1)
	s_bitset1_b32 s0, 10
	s_mov_b32 m0, s0
	s_sendmsg sendmsg(MSG_INTERRUPT)
	s_mov_b32 m0, ttmp2
.LBB6_1729:                             ; =>This Inner Loop Header: Depth=1
	s_sethalt 5
	s_branch .LBB6_1729
.LBB6_1730:
	s_trap 2
	s_sendmsg_rtn_b32 s0, sendmsg(MSG_RTN_GET_DOORBELL)
	s_mov_b32 ttmp2, m0
	s_waitcnt lgkmcnt(0)
	s_and_b32 s0, s0, 0x3ff
	s_delay_alu instid0(SALU_CYCLE_1) | instskip(NEXT) | instid1(SALU_CYCLE_1)
	s_bitset1_b32 s0, 10
	s_mov_b32 m0, s0
	s_sendmsg sendmsg(MSG_INTERRUPT)
	s_mov_b32 m0, ttmp2
.LBB6_1731:                             ; =>This Inner Loop Header: Depth=1
	s_sethalt 5
	s_branch .LBB6_1731
.LBB6_1732:
	s_trap 2
	s_sendmsg_rtn_b32 s0, sendmsg(MSG_RTN_GET_DOORBELL)
	s_mov_b32 ttmp2, m0
	s_waitcnt lgkmcnt(0)
	s_and_b32 s0, s0, 0x3ff
	s_delay_alu instid0(SALU_CYCLE_1) | instskip(NEXT) | instid1(SALU_CYCLE_1)
	s_bitset1_b32 s0, 10
	s_mov_b32 m0, s0
	s_sendmsg sendmsg(MSG_INTERRUPT)
	s_mov_b32 m0, ttmp2
.LBB6_1733:                             ; =>This Inner Loop Header: Depth=1
	s_sethalt 5
	s_branch .LBB6_1733
.LBB6_1734:
	s_trap 2
	s_sendmsg_rtn_b32 s0, sendmsg(MSG_RTN_GET_DOORBELL)
	s_mov_b32 ttmp2, m0
	s_waitcnt lgkmcnt(0)
	s_and_b32 s0, s0, 0x3ff
	s_delay_alu instid0(SALU_CYCLE_1) | instskip(NEXT) | instid1(SALU_CYCLE_1)
	s_bitset1_b32 s0, 10
	s_mov_b32 m0, s0
	s_sendmsg sendmsg(MSG_INTERRUPT)
	s_mov_b32 m0, ttmp2
.LBB6_1735:                             ; =>This Inner Loop Header: Depth=1
	s_sethalt 5
	s_branch .LBB6_1735
.LBB6_1736:
	s_trap 2
	s_sendmsg_rtn_b32 s0, sendmsg(MSG_RTN_GET_DOORBELL)
	s_mov_b32 ttmp2, m0
	s_waitcnt lgkmcnt(0)
	s_and_b32 s0, s0, 0x3ff
	s_delay_alu instid0(SALU_CYCLE_1) | instskip(NEXT) | instid1(SALU_CYCLE_1)
	s_bitset1_b32 s0, 10
	s_mov_b32 m0, s0
	s_sendmsg sendmsg(MSG_INTERRUPT)
	s_mov_b32 m0, ttmp2
.LBB6_1737:                             ; =>This Inner Loop Header: Depth=1
	s_sethalt 5
	s_branch .LBB6_1737
.LBB6_1738:
	s_trap 2
	s_sendmsg_rtn_b32 s0, sendmsg(MSG_RTN_GET_DOORBELL)
	s_mov_b32 ttmp2, m0
	s_waitcnt lgkmcnt(0)
	s_and_b32 s0, s0, 0x3ff
	s_delay_alu instid0(SALU_CYCLE_1) | instskip(NEXT) | instid1(SALU_CYCLE_1)
	s_bitset1_b32 s0, 10
	s_mov_b32 m0, s0
	s_sendmsg sendmsg(MSG_INTERRUPT)
	s_mov_b32 m0, ttmp2
.LBB6_1739:                             ; =>This Inner Loop Header: Depth=1
	s_sethalt 5
	s_branch .LBB6_1739
.LBB6_1740:
	s_trap 2
	s_sendmsg_rtn_b32 s0, sendmsg(MSG_RTN_GET_DOORBELL)
	s_mov_b32 ttmp2, m0
	s_waitcnt lgkmcnt(0)
	s_and_b32 s0, s0, 0x3ff
	s_delay_alu instid0(SALU_CYCLE_1) | instskip(NEXT) | instid1(SALU_CYCLE_1)
	s_bitset1_b32 s0, 10
	s_mov_b32 m0, s0
	s_sendmsg sendmsg(MSG_INTERRUPT)
	s_mov_b32 m0, ttmp2
.LBB6_1741:                             ; =>This Inner Loop Header: Depth=1
	s_sethalt 5
	s_branch .LBB6_1741
.LBB6_1742:
	s_trap 2
	s_sendmsg_rtn_b32 s0, sendmsg(MSG_RTN_GET_DOORBELL)
	s_mov_b32 ttmp2, m0
	s_waitcnt lgkmcnt(0)
	s_and_b32 s0, s0, 0x3ff
	s_delay_alu instid0(SALU_CYCLE_1) | instskip(NEXT) | instid1(SALU_CYCLE_1)
	s_bitset1_b32 s0, 10
	s_mov_b32 m0, s0
	s_sendmsg sendmsg(MSG_INTERRUPT)
	s_mov_b32 m0, ttmp2
.LBB6_1743:                             ; =>This Inner Loop Header: Depth=1
	s_sethalt 5
	s_branch .LBB6_1743
.LBB6_1744:
	s_trap 2
	s_sendmsg_rtn_b32 s0, sendmsg(MSG_RTN_GET_DOORBELL)
	s_mov_b32 ttmp2, m0
	s_waitcnt lgkmcnt(0)
	s_and_b32 s0, s0, 0x3ff
	s_delay_alu instid0(SALU_CYCLE_1) | instskip(NEXT) | instid1(SALU_CYCLE_1)
	s_bitset1_b32 s0, 10
	s_mov_b32 m0, s0
	s_sendmsg sendmsg(MSG_INTERRUPT)
	s_mov_b32 m0, ttmp2
.LBB6_1745:                             ; =>This Inner Loop Header: Depth=1
	s_sethalt 5
	s_branch .LBB6_1745
.LBB6_1746:
	s_trap 2
	s_sendmsg_rtn_b32 s0, sendmsg(MSG_RTN_GET_DOORBELL)
	s_mov_b32 ttmp2, m0
	s_waitcnt lgkmcnt(0)
	s_and_b32 s0, s0, 0x3ff
	s_delay_alu instid0(SALU_CYCLE_1) | instskip(NEXT) | instid1(SALU_CYCLE_1)
	s_bitset1_b32 s0, 10
	s_mov_b32 m0, s0
	s_sendmsg sendmsg(MSG_INTERRUPT)
	s_mov_b32 m0, ttmp2
.LBB6_1747:                             ; =>This Inner Loop Header: Depth=1
	s_sethalt 5
	s_branch .LBB6_1747
.LBB6_1748:
	s_trap 2
	s_sendmsg_rtn_b32 s0, sendmsg(MSG_RTN_GET_DOORBELL)
	s_mov_b32 ttmp2, m0
	s_waitcnt lgkmcnt(0)
	s_and_b32 s0, s0, 0x3ff
	s_delay_alu instid0(SALU_CYCLE_1) | instskip(NEXT) | instid1(SALU_CYCLE_1)
	s_bitset1_b32 s0, 10
	s_mov_b32 m0, s0
	s_sendmsg sendmsg(MSG_INTERRUPT)
	s_mov_b32 m0, ttmp2
.LBB6_1749:                             ; =>This Inner Loop Header: Depth=1
	s_sethalt 5
	s_branch .LBB6_1749
.LBB6_1750:
	s_trap 2
	s_sendmsg_rtn_b32 s0, sendmsg(MSG_RTN_GET_DOORBELL)
	s_mov_b32 ttmp2, m0
	s_waitcnt lgkmcnt(0)
	s_and_b32 s0, s0, 0x3ff
	s_delay_alu instid0(SALU_CYCLE_1) | instskip(NEXT) | instid1(SALU_CYCLE_1)
	s_bitset1_b32 s0, 10
	s_mov_b32 m0, s0
	s_sendmsg sendmsg(MSG_INTERRUPT)
	s_mov_b32 m0, ttmp2
.LBB6_1751:                             ; =>This Inner Loop Header: Depth=1
	s_sethalt 5
	s_branch .LBB6_1751
.LBB6_1752:
	s_trap 2
	s_sendmsg_rtn_b32 s0, sendmsg(MSG_RTN_GET_DOORBELL)
	s_mov_b32 ttmp2, m0
	s_waitcnt lgkmcnt(0)
	s_and_b32 s0, s0, 0x3ff
	s_delay_alu instid0(SALU_CYCLE_1) | instskip(NEXT) | instid1(SALU_CYCLE_1)
	s_bitset1_b32 s0, 10
	s_mov_b32 m0, s0
	s_sendmsg sendmsg(MSG_INTERRUPT)
	s_mov_b32 m0, ttmp2
.LBB6_1753:                             ; =>This Inner Loop Header: Depth=1
	s_sethalt 5
	s_branch .LBB6_1753
.LBB6_1754:
	s_trap 2
	s_sendmsg_rtn_b32 s0, sendmsg(MSG_RTN_GET_DOORBELL)
	s_mov_b32 ttmp2, m0
	s_waitcnt lgkmcnt(0)
	s_and_b32 s0, s0, 0x3ff
	s_delay_alu instid0(SALU_CYCLE_1) | instskip(NEXT) | instid1(SALU_CYCLE_1)
	s_bitset1_b32 s0, 10
	s_mov_b32 m0, s0
	s_sendmsg sendmsg(MSG_INTERRUPT)
	s_mov_b32 m0, ttmp2
.LBB6_1755:                             ; =>This Inner Loop Header: Depth=1
	s_sethalt 5
	s_branch .LBB6_1755
.LBB6_1756:
	s_trap 2
	s_sendmsg_rtn_b32 s0, sendmsg(MSG_RTN_GET_DOORBELL)
	s_mov_b32 ttmp2, m0
	s_waitcnt lgkmcnt(0)
	s_and_b32 s0, s0, 0x3ff
	s_delay_alu instid0(SALU_CYCLE_1) | instskip(NEXT) | instid1(SALU_CYCLE_1)
	s_bitset1_b32 s0, 10
	s_mov_b32 m0, s0
	s_sendmsg sendmsg(MSG_INTERRUPT)
	s_mov_b32 m0, ttmp2
.LBB6_1757:                             ; =>This Inner Loop Header: Depth=1
	s_sethalt 5
	s_branch .LBB6_1757
.LBB6_1758:
	s_trap 2
	s_sendmsg_rtn_b32 s0, sendmsg(MSG_RTN_GET_DOORBELL)
	s_mov_b32 ttmp2, m0
	s_waitcnt lgkmcnt(0)
	s_and_b32 s0, s0, 0x3ff
	s_delay_alu instid0(SALU_CYCLE_1) | instskip(NEXT) | instid1(SALU_CYCLE_1)
	s_bitset1_b32 s0, 10
	s_mov_b32 m0, s0
	s_sendmsg sendmsg(MSG_INTERRUPT)
	s_mov_b32 m0, ttmp2
.LBB6_1759:                             ; =>This Inner Loop Header: Depth=1
	s_sethalt 5
	s_branch .LBB6_1759
.LBB6_1760:
	s_trap 2
	s_sendmsg_rtn_b32 s0, sendmsg(MSG_RTN_GET_DOORBELL)
	s_mov_b32 ttmp2, m0
	s_waitcnt lgkmcnt(0)
	s_and_b32 s0, s0, 0x3ff
	s_delay_alu instid0(SALU_CYCLE_1) | instskip(NEXT) | instid1(SALU_CYCLE_1)
	s_bitset1_b32 s0, 10
	s_mov_b32 m0, s0
	s_sendmsg sendmsg(MSG_INTERRUPT)
	s_mov_b32 m0, ttmp2
.LBB6_1761:                             ; =>This Inner Loop Header: Depth=1
	s_sethalt 5
	s_branch .LBB6_1761
.LBB6_1762:
	s_trap 2
	s_sendmsg_rtn_b32 s0, sendmsg(MSG_RTN_GET_DOORBELL)
	s_mov_b32 ttmp2, m0
	s_waitcnt lgkmcnt(0)
	s_and_b32 s0, s0, 0x3ff
	s_delay_alu instid0(SALU_CYCLE_1) | instskip(NEXT) | instid1(SALU_CYCLE_1)
	s_bitset1_b32 s0, 10
	s_mov_b32 m0, s0
	s_sendmsg sendmsg(MSG_INTERRUPT)
	s_mov_b32 m0, ttmp2
.LBB6_1763:                             ; =>This Inner Loop Header: Depth=1
	s_sethalt 5
	s_branch .LBB6_1763
.LBB6_1764:
	s_trap 2
	s_sendmsg_rtn_b32 s0, sendmsg(MSG_RTN_GET_DOORBELL)
	s_mov_b32 ttmp2, m0
	s_waitcnt lgkmcnt(0)
	s_and_b32 s0, s0, 0x3ff
	s_delay_alu instid0(SALU_CYCLE_1) | instskip(NEXT) | instid1(SALU_CYCLE_1)
	s_bitset1_b32 s0, 10
	s_mov_b32 m0, s0
	s_sendmsg sendmsg(MSG_INTERRUPT)
	s_mov_b32 m0, ttmp2
.LBB6_1765:                             ; =>This Inner Loop Header: Depth=1
	s_sethalt 5
	s_branch .LBB6_1765
.LBB6_1766:
	s_trap 2
	s_sendmsg_rtn_b32 s0, sendmsg(MSG_RTN_GET_DOORBELL)
	s_mov_b32 ttmp2, m0
	s_waitcnt lgkmcnt(0)
	s_and_b32 s0, s0, 0x3ff
	s_delay_alu instid0(SALU_CYCLE_1) | instskip(NEXT) | instid1(SALU_CYCLE_1)
	s_bitset1_b32 s0, 10
	s_mov_b32 m0, s0
	s_sendmsg sendmsg(MSG_INTERRUPT)
	s_mov_b32 m0, ttmp2
.LBB6_1767:                             ; =>This Inner Loop Header: Depth=1
	s_sethalt 5
	s_branch .LBB6_1767
.LBB6_1768:
	s_trap 2
	s_sendmsg_rtn_b32 s0, sendmsg(MSG_RTN_GET_DOORBELL)
	s_mov_b32 ttmp2, m0
	s_waitcnt lgkmcnt(0)
	s_and_b32 s0, s0, 0x3ff
	s_delay_alu instid0(SALU_CYCLE_1) | instskip(NEXT) | instid1(SALU_CYCLE_1)
	s_bitset1_b32 s0, 10
	s_mov_b32 m0, s0
	s_sendmsg sendmsg(MSG_INTERRUPT)
	s_mov_b32 m0, ttmp2
.LBB6_1769:                             ; =>This Inner Loop Header: Depth=1
	s_sethalt 5
	s_branch .LBB6_1769
.LBB6_1770:
	s_trap 2
	s_sendmsg_rtn_b32 s0, sendmsg(MSG_RTN_GET_DOORBELL)
	s_mov_b32 ttmp2, m0
	s_waitcnt lgkmcnt(0)
	s_and_b32 s0, s0, 0x3ff
	s_delay_alu instid0(SALU_CYCLE_1) | instskip(NEXT) | instid1(SALU_CYCLE_1)
	s_bitset1_b32 s0, 10
	s_mov_b32 m0, s0
	s_sendmsg sendmsg(MSG_INTERRUPT)
	s_mov_b32 m0, ttmp2
.LBB6_1771:                             ; =>This Inner Loop Header: Depth=1
	s_sethalt 5
	s_branch .LBB6_1771
.LBB6_1772:
	s_trap 2
	s_sendmsg_rtn_b32 s0, sendmsg(MSG_RTN_GET_DOORBELL)
	s_mov_b32 ttmp2, m0
	s_waitcnt lgkmcnt(0)
	s_and_b32 s0, s0, 0x3ff
	s_delay_alu instid0(SALU_CYCLE_1) | instskip(NEXT) | instid1(SALU_CYCLE_1)
	s_bitset1_b32 s0, 10
	s_mov_b32 m0, s0
	s_sendmsg sendmsg(MSG_INTERRUPT)
	s_mov_b32 m0, ttmp2
.LBB6_1773:                             ; =>This Inner Loop Header: Depth=1
	s_sethalt 5
	s_branch .LBB6_1773
.LBB6_1774:
	s_trap 2
	s_sendmsg_rtn_b32 s0, sendmsg(MSG_RTN_GET_DOORBELL)
	s_mov_b32 ttmp2, m0
	s_waitcnt lgkmcnt(0)
	s_and_b32 s0, s0, 0x3ff
	s_delay_alu instid0(SALU_CYCLE_1) | instskip(NEXT) | instid1(SALU_CYCLE_1)
	s_bitset1_b32 s0, 10
	s_mov_b32 m0, s0
	s_sendmsg sendmsg(MSG_INTERRUPT)
	s_mov_b32 m0, ttmp2
.LBB6_1775:                             ; =>This Inner Loop Header: Depth=1
	s_sethalt 5
	s_branch .LBB6_1775
.LBB6_1776:
	s_trap 2
	s_sendmsg_rtn_b32 s0, sendmsg(MSG_RTN_GET_DOORBELL)
	s_mov_b32 ttmp2, m0
	s_waitcnt lgkmcnt(0)
	s_and_b32 s0, s0, 0x3ff
	s_delay_alu instid0(SALU_CYCLE_1) | instskip(NEXT) | instid1(SALU_CYCLE_1)
	s_bitset1_b32 s0, 10
	s_mov_b32 m0, s0
	s_sendmsg sendmsg(MSG_INTERRUPT)
	s_mov_b32 m0, ttmp2
.LBB6_1777:                             ; =>This Inner Loop Header: Depth=1
	s_sethalt 5
	s_branch .LBB6_1777
.LBB6_1778:
	s_trap 2
	s_sendmsg_rtn_b32 s0, sendmsg(MSG_RTN_GET_DOORBELL)
	s_mov_b32 ttmp2, m0
	s_waitcnt lgkmcnt(0)
	s_and_b32 s0, s0, 0x3ff
	s_delay_alu instid0(SALU_CYCLE_1) | instskip(NEXT) | instid1(SALU_CYCLE_1)
	s_bitset1_b32 s0, 10
	s_mov_b32 m0, s0
	s_sendmsg sendmsg(MSG_INTERRUPT)
	s_mov_b32 m0, ttmp2
.LBB6_1779:                             ; =>This Inner Loop Header: Depth=1
	s_sethalt 5
	s_branch .LBB6_1779
.LBB6_1780:
	s_trap 2
	s_sendmsg_rtn_b32 s0, sendmsg(MSG_RTN_GET_DOORBELL)
	s_mov_b32 ttmp2, m0
	s_waitcnt lgkmcnt(0)
	s_and_b32 s0, s0, 0x3ff
	s_delay_alu instid0(SALU_CYCLE_1) | instskip(NEXT) | instid1(SALU_CYCLE_1)
	s_bitset1_b32 s0, 10
	s_mov_b32 m0, s0
	s_sendmsg sendmsg(MSG_INTERRUPT)
	s_mov_b32 m0, ttmp2
.LBB6_1781:                             ; =>This Inner Loop Header: Depth=1
	s_sethalt 5
	s_branch .LBB6_1781
.LBB6_1782:
	s_trap 2
	s_sendmsg_rtn_b32 s0, sendmsg(MSG_RTN_GET_DOORBELL)
	s_mov_b32 ttmp2, m0
	s_waitcnt lgkmcnt(0)
	s_and_b32 s0, s0, 0x3ff
	s_delay_alu instid0(SALU_CYCLE_1) | instskip(NEXT) | instid1(SALU_CYCLE_1)
	s_bitset1_b32 s0, 10
	s_mov_b32 m0, s0
	s_sendmsg sendmsg(MSG_INTERRUPT)
	s_mov_b32 m0, ttmp2
.LBB6_1783:                             ; =>This Inner Loop Header: Depth=1
	s_sethalt 5
	s_branch .LBB6_1783
.LBB6_1784:
	s_trap 2
	s_sendmsg_rtn_b32 s0, sendmsg(MSG_RTN_GET_DOORBELL)
	s_mov_b32 ttmp2, m0
	s_waitcnt lgkmcnt(0)
	s_and_b32 s0, s0, 0x3ff
	s_delay_alu instid0(SALU_CYCLE_1) | instskip(NEXT) | instid1(SALU_CYCLE_1)
	s_bitset1_b32 s0, 10
	s_mov_b32 m0, s0
	s_sendmsg sendmsg(MSG_INTERRUPT)
	s_mov_b32 m0, ttmp2
.LBB6_1785:                             ; =>This Inner Loop Header: Depth=1
	s_sethalt 5
	s_branch .LBB6_1785
.LBB6_1786:
	s_trap 2
	s_sendmsg_rtn_b32 s0, sendmsg(MSG_RTN_GET_DOORBELL)
	s_mov_b32 ttmp2, m0
	s_waitcnt lgkmcnt(0)
	s_and_b32 s0, s0, 0x3ff
	s_delay_alu instid0(SALU_CYCLE_1) | instskip(NEXT) | instid1(SALU_CYCLE_1)
	s_bitset1_b32 s0, 10
	s_mov_b32 m0, s0
	s_sendmsg sendmsg(MSG_INTERRUPT)
	s_mov_b32 m0, ttmp2
.LBB6_1787:                             ; =>This Inner Loop Header: Depth=1
	s_sethalt 5
	s_branch .LBB6_1787
.LBB6_1788:
	s_trap 2
	s_sendmsg_rtn_b32 s0, sendmsg(MSG_RTN_GET_DOORBELL)
	s_mov_b32 ttmp2, m0
	s_waitcnt lgkmcnt(0)
	s_and_b32 s0, s0, 0x3ff
	s_delay_alu instid0(SALU_CYCLE_1) | instskip(NEXT) | instid1(SALU_CYCLE_1)
	s_bitset1_b32 s0, 10
	s_mov_b32 m0, s0
	s_sendmsg sendmsg(MSG_INTERRUPT)
	s_mov_b32 m0, ttmp2
.LBB6_1789:                             ; =>This Inner Loop Header: Depth=1
	s_sethalt 5
	s_branch .LBB6_1789
.LBB6_1790:
	s_trap 2
	s_sendmsg_rtn_b32 s0, sendmsg(MSG_RTN_GET_DOORBELL)
	s_mov_b32 ttmp2, m0
	s_waitcnt lgkmcnt(0)
	s_and_b32 s0, s0, 0x3ff
	s_delay_alu instid0(SALU_CYCLE_1) | instskip(NEXT) | instid1(SALU_CYCLE_1)
	s_bitset1_b32 s0, 10
	s_mov_b32 m0, s0
	s_sendmsg sendmsg(MSG_INTERRUPT)
	s_mov_b32 m0, ttmp2
.LBB6_1791:                             ; =>This Inner Loop Header: Depth=1
	s_sethalt 5
	s_branch .LBB6_1791
.LBB6_1792:
	s_trap 2
	s_sendmsg_rtn_b32 s0, sendmsg(MSG_RTN_GET_DOORBELL)
	s_mov_b32 ttmp2, m0
	s_waitcnt lgkmcnt(0)
	s_and_b32 s0, s0, 0x3ff
	s_delay_alu instid0(SALU_CYCLE_1) | instskip(NEXT) | instid1(SALU_CYCLE_1)
	s_bitset1_b32 s0, 10
	s_mov_b32 m0, s0
	s_sendmsg sendmsg(MSG_INTERRUPT)
	s_mov_b32 m0, ttmp2
.LBB6_1793:                             ; =>This Inner Loop Header: Depth=1
	s_sethalt 5
	s_branch .LBB6_1793
.LBB6_1794:
	s_trap 2
	s_sendmsg_rtn_b32 s0, sendmsg(MSG_RTN_GET_DOORBELL)
	s_mov_b32 ttmp2, m0
	s_waitcnt lgkmcnt(0)
	s_and_b32 s0, s0, 0x3ff
	s_delay_alu instid0(SALU_CYCLE_1) | instskip(NEXT) | instid1(SALU_CYCLE_1)
	s_bitset1_b32 s0, 10
	s_mov_b32 m0, s0
	s_sendmsg sendmsg(MSG_INTERRUPT)
	s_mov_b32 m0, ttmp2
.LBB6_1795:                             ; =>This Inner Loop Header: Depth=1
	s_sethalt 5
	s_branch .LBB6_1795
.LBB6_1796:
	s_trap 2
	s_sendmsg_rtn_b32 s0, sendmsg(MSG_RTN_GET_DOORBELL)
	s_mov_b32 ttmp2, m0
	s_waitcnt lgkmcnt(0)
	s_and_b32 s0, s0, 0x3ff
	s_delay_alu instid0(SALU_CYCLE_1) | instskip(NEXT) | instid1(SALU_CYCLE_1)
	s_bitset1_b32 s0, 10
	s_mov_b32 m0, s0
	s_sendmsg sendmsg(MSG_INTERRUPT)
	s_mov_b32 m0, ttmp2
.LBB6_1797:                             ; =>This Inner Loop Header: Depth=1
	s_sethalt 5
	s_branch .LBB6_1797
.LBB6_1798:
	s_trap 2
	s_sendmsg_rtn_b32 s0, sendmsg(MSG_RTN_GET_DOORBELL)
	s_mov_b32 ttmp2, m0
	s_waitcnt lgkmcnt(0)
	s_and_b32 s0, s0, 0x3ff
	s_delay_alu instid0(SALU_CYCLE_1) | instskip(NEXT) | instid1(SALU_CYCLE_1)
	s_bitset1_b32 s0, 10
	s_mov_b32 m0, s0
	s_sendmsg sendmsg(MSG_INTERRUPT)
	s_mov_b32 m0, ttmp2
.LBB6_1799:                             ; =>This Inner Loop Header: Depth=1
	s_sethalt 5
	s_branch .LBB6_1799
.LBB6_1800:
	s_trap 2
	s_sendmsg_rtn_b32 s0, sendmsg(MSG_RTN_GET_DOORBELL)
	s_mov_b32 ttmp2, m0
	s_waitcnt lgkmcnt(0)
	s_and_b32 s0, s0, 0x3ff
	s_delay_alu instid0(SALU_CYCLE_1) | instskip(NEXT) | instid1(SALU_CYCLE_1)
	s_bitset1_b32 s0, 10
	s_mov_b32 m0, s0
	s_sendmsg sendmsg(MSG_INTERRUPT)
	s_mov_b32 m0, ttmp2
.LBB6_1801:                             ; =>This Inner Loop Header: Depth=1
	s_sethalt 5
	s_branch .LBB6_1801
.LBB6_1802:
	s_trap 2
	s_sendmsg_rtn_b32 s0, sendmsg(MSG_RTN_GET_DOORBELL)
	s_mov_b32 ttmp2, m0
	s_waitcnt lgkmcnt(0)
	s_and_b32 s0, s0, 0x3ff
	s_delay_alu instid0(SALU_CYCLE_1) | instskip(NEXT) | instid1(SALU_CYCLE_1)
	s_bitset1_b32 s0, 10
	s_mov_b32 m0, s0
	s_sendmsg sendmsg(MSG_INTERRUPT)
	s_mov_b32 m0, ttmp2
.LBB6_1803:                             ; =>This Inner Loop Header: Depth=1
	s_sethalt 5
	s_branch .LBB6_1803
.LBB6_1804:
	s_trap 2
	s_sendmsg_rtn_b32 s0, sendmsg(MSG_RTN_GET_DOORBELL)
	s_mov_b32 ttmp2, m0
	s_waitcnt lgkmcnt(0)
	s_and_b32 s0, s0, 0x3ff
	s_delay_alu instid0(SALU_CYCLE_1) | instskip(NEXT) | instid1(SALU_CYCLE_1)
	s_bitset1_b32 s0, 10
	s_mov_b32 m0, s0
	s_sendmsg sendmsg(MSG_INTERRUPT)
	s_mov_b32 m0, ttmp2
.LBB6_1805:                             ; =>This Inner Loop Header: Depth=1
	s_sethalt 5
	s_branch .LBB6_1805
.LBB6_1806:
	s_trap 2
	s_sendmsg_rtn_b32 s0, sendmsg(MSG_RTN_GET_DOORBELL)
	s_mov_b32 ttmp2, m0
	s_waitcnt lgkmcnt(0)
	s_and_b32 s0, s0, 0x3ff
	s_delay_alu instid0(SALU_CYCLE_1) | instskip(NEXT) | instid1(SALU_CYCLE_1)
	s_bitset1_b32 s0, 10
	s_mov_b32 m0, s0
	s_sendmsg sendmsg(MSG_INTERRUPT)
	s_mov_b32 m0, ttmp2
.LBB6_1807:                             ; =>This Inner Loop Header: Depth=1
	s_sethalt 5
	s_branch .LBB6_1807
.LBB6_1808:
	s_trap 2
	s_sendmsg_rtn_b32 s0, sendmsg(MSG_RTN_GET_DOORBELL)
	s_mov_b32 ttmp2, m0
	s_waitcnt lgkmcnt(0)
	s_and_b32 s0, s0, 0x3ff
	s_delay_alu instid0(SALU_CYCLE_1) | instskip(NEXT) | instid1(SALU_CYCLE_1)
	s_bitset1_b32 s0, 10
	s_mov_b32 m0, s0
	s_sendmsg sendmsg(MSG_INTERRUPT)
	s_mov_b32 m0, ttmp2
.LBB6_1809:                             ; =>This Inner Loop Header: Depth=1
	s_sethalt 5
	s_branch .LBB6_1809
.LBB6_1810:
	s_trap 2
	s_sendmsg_rtn_b32 s0, sendmsg(MSG_RTN_GET_DOORBELL)
	s_mov_b32 ttmp2, m0
	s_waitcnt lgkmcnt(0)
	s_and_b32 s0, s0, 0x3ff
	s_delay_alu instid0(SALU_CYCLE_1) | instskip(NEXT) | instid1(SALU_CYCLE_1)
	s_bitset1_b32 s0, 10
	s_mov_b32 m0, s0
	s_sendmsg sendmsg(MSG_INTERRUPT)
	s_mov_b32 m0, ttmp2
.LBB6_1811:                             ; =>This Inner Loop Header: Depth=1
	s_sethalt 5
	s_branch .LBB6_1811
.LBB6_1812:
	s_trap 2
	s_sendmsg_rtn_b32 s0, sendmsg(MSG_RTN_GET_DOORBELL)
	s_mov_b32 ttmp2, m0
	s_waitcnt lgkmcnt(0)
	s_and_b32 s0, s0, 0x3ff
	s_delay_alu instid0(SALU_CYCLE_1) | instskip(NEXT) | instid1(SALU_CYCLE_1)
	s_bitset1_b32 s0, 10
	s_mov_b32 m0, s0
	s_sendmsg sendmsg(MSG_INTERRUPT)
	s_mov_b32 m0, ttmp2
.LBB6_1813:                             ; =>This Inner Loop Header: Depth=1
	s_sethalt 5
	s_branch .LBB6_1813
.LBB6_1814:
	s_trap 2
	s_sendmsg_rtn_b32 s0, sendmsg(MSG_RTN_GET_DOORBELL)
	s_mov_b32 ttmp2, m0
	s_waitcnt lgkmcnt(0)
	s_and_b32 s0, s0, 0x3ff
	s_delay_alu instid0(SALU_CYCLE_1) | instskip(NEXT) | instid1(SALU_CYCLE_1)
	s_bitset1_b32 s0, 10
	s_mov_b32 m0, s0
	s_sendmsg sendmsg(MSG_INTERRUPT)
	s_mov_b32 m0, ttmp2
.LBB6_1815:                             ; =>This Inner Loop Header: Depth=1
	s_sethalt 5
	s_branch .LBB6_1815
.LBB6_1816:
	s_trap 2
	s_sendmsg_rtn_b32 s0, sendmsg(MSG_RTN_GET_DOORBELL)
	s_mov_b32 ttmp2, m0
	s_waitcnt lgkmcnt(0)
	s_and_b32 s0, s0, 0x3ff
	s_delay_alu instid0(SALU_CYCLE_1) | instskip(NEXT) | instid1(SALU_CYCLE_1)
	s_bitset1_b32 s0, 10
	s_mov_b32 m0, s0
	s_sendmsg sendmsg(MSG_INTERRUPT)
	s_mov_b32 m0, ttmp2
.LBB6_1817:                             ; =>This Inner Loop Header: Depth=1
	s_sethalt 5
	s_branch .LBB6_1817
.LBB6_1818:
	s_trap 2
	s_sendmsg_rtn_b32 s0, sendmsg(MSG_RTN_GET_DOORBELL)
	s_mov_b32 ttmp2, m0
	s_waitcnt lgkmcnt(0)
	s_and_b32 s0, s0, 0x3ff
	s_delay_alu instid0(SALU_CYCLE_1) | instskip(NEXT) | instid1(SALU_CYCLE_1)
	s_bitset1_b32 s0, 10
	s_mov_b32 m0, s0
	s_sendmsg sendmsg(MSG_INTERRUPT)
	s_mov_b32 m0, ttmp2
.LBB6_1819:                             ; =>This Inner Loop Header: Depth=1
	s_sethalt 5
	s_branch .LBB6_1819
.LBB6_1820:
	s_trap 2
	s_sendmsg_rtn_b32 s0, sendmsg(MSG_RTN_GET_DOORBELL)
	s_mov_b32 ttmp2, m0
	s_waitcnt lgkmcnt(0)
	s_and_b32 s0, s0, 0x3ff
	s_delay_alu instid0(SALU_CYCLE_1) | instskip(NEXT) | instid1(SALU_CYCLE_1)
	s_bitset1_b32 s0, 10
	s_mov_b32 m0, s0
	s_sendmsg sendmsg(MSG_INTERRUPT)
	s_mov_b32 m0, ttmp2
.LBB6_1821:                             ; =>This Inner Loop Header: Depth=1
	s_sethalt 5
	s_branch .LBB6_1821
.LBB6_1822:
	s_trap 2
	s_sendmsg_rtn_b32 s0, sendmsg(MSG_RTN_GET_DOORBELL)
	s_mov_b32 ttmp2, m0
	s_waitcnt lgkmcnt(0)
	s_and_b32 s0, s0, 0x3ff
	s_delay_alu instid0(SALU_CYCLE_1) | instskip(NEXT) | instid1(SALU_CYCLE_1)
	s_bitset1_b32 s0, 10
	s_mov_b32 m0, s0
	s_sendmsg sendmsg(MSG_INTERRUPT)
	s_mov_b32 m0, ttmp2
.LBB6_1823:                             ; =>This Inner Loop Header: Depth=1
	s_sethalt 5
	s_branch .LBB6_1823
.LBB6_1824:
	s_trap 2
	s_sendmsg_rtn_b32 s0, sendmsg(MSG_RTN_GET_DOORBELL)
	s_mov_b32 ttmp2, m0
	s_waitcnt lgkmcnt(0)
	s_and_b32 s0, s0, 0x3ff
	s_delay_alu instid0(SALU_CYCLE_1) | instskip(NEXT) | instid1(SALU_CYCLE_1)
	s_bitset1_b32 s0, 10
	s_mov_b32 m0, s0
	s_sendmsg sendmsg(MSG_INTERRUPT)
	s_mov_b32 m0, ttmp2
.LBB6_1825:                             ; =>This Inner Loop Header: Depth=1
	s_sethalt 5
	s_branch .LBB6_1825
.LBB6_1826:
	s_trap 2
	s_sendmsg_rtn_b32 s0, sendmsg(MSG_RTN_GET_DOORBELL)
	s_mov_b32 ttmp2, m0
	s_waitcnt lgkmcnt(0)
	s_and_b32 s0, s0, 0x3ff
	s_delay_alu instid0(SALU_CYCLE_1) | instskip(NEXT) | instid1(SALU_CYCLE_1)
	s_bitset1_b32 s0, 10
	s_mov_b32 m0, s0
	s_sendmsg sendmsg(MSG_INTERRUPT)
	s_mov_b32 m0, ttmp2
.LBB6_1827:                             ; =>This Inner Loop Header: Depth=1
	s_sethalt 5
	s_branch .LBB6_1827
.LBB6_1828:
	s_trap 2
	s_sendmsg_rtn_b32 s0, sendmsg(MSG_RTN_GET_DOORBELL)
	s_mov_b32 ttmp2, m0
	s_waitcnt lgkmcnt(0)
	s_and_b32 s0, s0, 0x3ff
	s_delay_alu instid0(SALU_CYCLE_1) | instskip(NEXT) | instid1(SALU_CYCLE_1)
	s_bitset1_b32 s0, 10
	s_mov_b32 m0, s0
	s_sendmsg sendmsg(MSG_INTERRUPT)
	s_mov_b32 m0, ttmp2
.LBB6_1829:                             ; =>This Inner Loop Header: Depth=1
	s_sethalt 5
	s_branch .LBB6_1829
.LBB6_1830:
	s_trap 2
	s_sendmsg_rtn_b32 s0, sendmsg(MSG_RTN_GET_DOORBELL)
	s_mov_b32 ttmp2, m0
	s_waitcnt lgkmcnt(0)
	s_and_b32 s0, s0, 0x3ff
	s_delay_alu instid0(SALU_CYCLE_1) | instskip(NEXT) | instid1(SALU_CYCLE_1)
	s_bitset1_b32 s0, 10
	s_mov_b32 m0, s0
	s_sendmsg sendmsg(MSG_INTERRUPT)
	s_mov_b32 m0, ttmp2
.LBB6_1831:                             ; =>This Inner Loop Header: Depth=1
	s_sethalt 5
	s_branch .LBB6_1831
.LBB6_1832:
	s_trap 2
	s_sendmsg_rtn_b32 s0, sendmsg(MSG_RTN_GET_DOORBELL)
	s_mov_b32 ttmp2, m0
	s_waitcnt lgkmcnt(0)
	s_and_b32 s0, s0, 0x3ff
	s_delay_alu instid0(SALU_CYCLE_1) | instskip(NEXT) | instid1(SALU_CYCLE_1)
	s_bitset1_b32 s0, 10
	s_mov_b32 m0, s0
	s_sendmsg sendmsg(MSG_INTERRUPT)
	s_mov_b32 m0, ttmp2
.LBB6_1833:                             ; =>This Inner Loop Header: Depth=1
	s_sethalt 5
	s_branch .LBB6_1833
.LBB6_1834:
	s_trap 2
	s_sendmsg_rtn_b32 s0, sendmsg(MSG_RTN_GET_DOORBELL)
	s_mov_b32 ttmp2, m0
	s_waitcnt lgkmcnt(0)
	s_and_b32 s0, s0, 0x3ff
	s_delay_alu instid0(SALU_CYCLE_1) | instskip(NEXT) | instid1(SALU_CYCLE_1)
	s_bitset1_b32 s0, 10
	s_mov_b32 m0, s0
	s_sendmsg sendmsg(MSG_INTERRUPT)
	s_mov_b32 m0, ttmp2
.LBB6_1835:                             ; =>This Inner Loop Header: Depth=1
	s_sethalt 5
	s_branch .LBB6_1835
.LBB6_1836:
	s_trap 2
	s_sendmsg_rtn_b32 s0, sendmsg(MSG_RTN_GET_DOORBELL)
	s_mov_b32 ttmp2, m0
	s_waitcnt lgkmcnt(0)
	s_and_b32 s0, s0, 0x3ff
	s_delay_alu instid0(SALU_CYCLE_1) | instskip(NEXT) | instid1(SALU_CYCLE_1)
	s_bitset1_b32 s0, 10
	s_mov_b32 m0, s0
	s_sendmsg sendmsg(MSG_INTERRUPT)
	s_mov_b32 m0, ttmp2
.LBB6_1837:                             ; =>This Inner Loop Header: Depth=1
	s_sethalt 5
	s_branch .LBB6_1837
.LBB6_1838:
	s_trap 2
	s_sendmsg_rtn_b32 s0, sendmsg(MSG_RTN_GET_DOORBELL)
	s_mov_b32 ttmp2, m0
	s_waitcnt lgkmcnt(0)
	s_and_b32 s0, s0, 0x3ff
	s_delay_alu instid0(SALU_CYCLE_1) | instskip(NEXT) | instid1(SALU_CYCLE_1)
	s_bitset1_b32 s0, 10
	s_mov_b32 m0, s0
	s_sendmsg sendmsg(MSG_INTERRUPT)
	s_mov_b32 m0, ttmp2
.LBB6_1839:                             ; =>This Inner Loop Header: Depth=1
	s_sethalt 5
	s_branch .LBB6_1839
.LBB6_1840:
	s_trap 2
	s_sendmsg_rtn_b32 s0, sendmsg(MSG_RTN_GET_DOORBELL)
	s_mov_b32 ttmp2, m0
	s_waitcnt lgkmcnt(0)
	s_and_b32 s0, s0, 0x3ff
	s_delay_alu instid0(SALU_CYCLE_1) | instskip(NEXT) | instid1(SALU_CYCLE_1)
	s_bitset1_b32 s0, 10
	s_mov_b32 m0, s0
	s_sendmsg sendmsg(MSG_INTERRUPT)
	s_mov_b32 m0, ttmp2
.LBB6_1841:                             ; =>This Inner Loop Header: Depth=1
	s_sethalt 5
	s_branch .LBB6_1841
.LBB6_1842:
	s_trap 2
	s_sendmsg_rtn_b32 s0, sendmsg(MSG_RTN_GET_DOORBELL)
	s_mov_b32 ttmp2, m0
	s_waitcnt lgkmcnt(0)
	s_and_b32 s0, s0, 0x3ff
	s_delay_alu instid0(SALU_CYCLE_1) | instskip(NEXT) | instid1(SALU_CYCLE_1)
	s_bitset1_b32 s0, 10
	s_mov_b32 m0, s0
	s_sendmsg sendmsg(MSG_INTERRUPT)
	s_mov_b32 m0, ttmp2
.LBB6_1843:                             ; =>This Inner Loop Header: Depth=1
	s_sethalt 5
	s_branch .LBB6_1843
.LBB6_1844:
	s_trap 2
	s_sendmsg_rtn_b32 s0, sendmsg(MSG_RTN_GET_DOORBELL)
	s_mov_b32 ttmp2, m0
	s_waitcnt lgkmcnt(0)
	s_and_b32 s0, s0, 0x3ff
	s_delay_alu instid0(SALU_CYCLE_1) | instskip(NEXT) | instid1(SALU_CYCLE_1)
	s_bitset1_b32 s0, 10
	s_mov_b32 m0, s0
	s_sendmsg sendmsg(MSG_INTERRUPT)
	s_mov_b32 m0, ttmp2
.LBB6_1845:                             ; =>This Inner Loop Header: Depth=1
	s_sethalt 5
	s_branch .LBB6_1845
.LBB6_1846:
	s_trap 2
	s_sendmsg_rtn_b32 s0, sendmsg(MSG_RTN_GET_DOORBELL)
	s_mov_b32 ttmp2, m0
	s_waitcnt lgkmcnt(0)
	s_and_b32 s0, s0, 0x3ff
	s_delay_alu instid0(SALU_CYCLE_1) | instskip(NEXT) | instid1(SALU_CYCLE_1)
	s_bitset1_b32 s0, 10
	s_mov_b32 m0, s0
	s_sendmsg sendmsg(MSG_INTERRUPT)
	s_mov_b32 m0, ttmp2
.LBB6_1847:                             ; =>This Inner Loop Header: Depth=1
	s_sethalt 5
	s_branch .LBB6_1847
.LBB6_1848:
	s_trap 2
	s_sendmsg_rtn_b32 s0, sendmsg(MSG_RTN_GET_DOORBELL)
	s_mov_b32 ttmp2, m0
	s_waitcnt lgkmcnt(0)
	s_and_b32 s0, s0, 0x3ff
	s_delay_alu instid0(SALU_CYCLE_1) | instskip(NEXT) | instid1(SALU_CYCLE_1)
	s_bitset1_b32 s0, 10
	s_mov_b32 m0, s0
	s_sendmsg sendmsg(MSG_INTERRUPT)
	s_mov_b32 m0, ttmp2
.LBB6_1849:                             ; =>This Inner Loop Header: Depth=1
	s_sethalt 5
	s_branch .LBB6_1849
.LBB6_1850:
	s_trap 2
	s_sendmsg_rtn_b32 s0, sendmsg(MSG_RTN_GET_DOORBELL)
	s_mov_b32 ttmp2, m0
	s_waitcnt lgkmcnt(0)
	s_and_b32 s0, s0, 0x3ff
	s_delay_alu instid0(SALU_CYCLE_1) | instskip(NEXT) | instid1(SALU_CYCLE_1)
	s_bitset1_b32 s0, 10
	s_mov_b32 m0, s0
	s_sendmsg sendmsg(MSG_INTERRUPT)
	s_mov_b32 m0, ttmp2
.LBB6_1851:                             ; =>This Inner Loop Header: Depth=1
	s_sethalt 5
	s_branch .LBB6_1851
.LBB6_1852:
	s_trap 2
	s_sendmsg_rtn_b32 s0, sendmsg(MSG_RTN_GET_DOORBELL)
	s_mov_b32 ttmp2, m0
	s_waitcnt lgkmcnt(0)
	s_and_b32 s0, s0, 0x3ff
	s_delay_alu instid0(SALU_CYCLE_1) | instskip(NEXT) | instid1(SALU_CYCLE_1)
	s_bitset1_b32 s0, 10
	s_mov_b32 m0, s0
	s_sendmsg sendmsg(MSG_INTERRUPT)
	s_mov_b32 m0, ttmp2
.LBB6_1853:                             ; =>This Inner Loop Header: Depth=1
	s_sethalt 5
	s_branch .LBB6_1853
.LBB6_1854:
	s_trap 2
	s_sendmsg_rtn_b32 s0, sendmsg(MSG_RTN_GET_DOORBELL)
	s_mov_b32 ttmp2, m0
	s_waitcnt lgkmcnt(0)
	s_and_b32 s0, s0, 0x3ff
	s_delay_alu instid0(SALU_CYCLE_1) | instskip(NEXT) | instid1(SALU_CYCLE_1)
	s_bitset1_b32 s0, 10
	s_mov_b32 m0, s0
	s_sendmsg sendmsg(MSG_INTERRUPT)
	s_mov_b32 m0, ttmp2
.LBB6_1855:                             ; =>This Inner Loop Header: Depth=1
	s_sethalt 5
	s_branch .LBB6_1855
.LBB6_1856:
	s_trap 2
	s_sendmsg_rtn_b32 s0, sendmsg(MSG_RTN_GET_DOORBELL)
	s_mov_b32 ttmp2, m0
	s_waitcnt lgkmcnt(0)
	s_and_b32 s0, s0, 0x3ff
	s_delay_alu instid0(SALU_CYCLE_1) | instskip(NEXT) | instid1(SALU_CYCLE_1)
	s_bitset1_b32 s0, 10
	s_mov_b32 m0, s0
	s_sendmsg sendmsg(MSG_INTERRUPT)
	s_mov_b32 m0, ttmp2
.LBB6_1857:                             ; =>This Inner Loop Header: Depth=1
	s_sethalt 5
	s_branch .LBB6_1857
.LBB6_1858:
	s_trap 2
	s_sendmsg_rtn_b32 s0, sendmsg(MSG_RTN_GET_DOORBELL)
	s_mov_b32 ttmp2, m0
	s_waitcnt lgkmcnt(0)
	s_and_b32 s0, s0, 0x3ff
	s_delay_alu instid0(SALU_CYCLE_1) | instskip(NEXT) | instid1(SALU_CYCLE_1)
	s_bitset1_b32 s0, 10
	s_mov_b32 m0, s0
	s_sendmsg sendmsg(MSG_INTERRUPT)
	s_mov_b32 m0, ttmp2
.LBB6_1859:                             ; =>This Inner Loop Header: Depth=1
	s_sethalt 5
	s_branch .LBB6_1859
.LBB6_1860:
	s_trap 2
	s_sendmsg_rtn_b32 s0, sendmsg(MSG_RTN_GET_DOORBELL)
	s_mov_b32 ttmp2, m0
	s_waitcnt lgkmcnt(0)
	s_and_b32 s0, s0, 0x3ff
	s_delay_alu instid0(SALU_CYCLE_1) | instskip(NEXT) | instid1(SALU_CYCLE_1)
	s_bitset1_b32 s0, 10
	s_mov_b32 m0, s0
	s_sendmsg sendmsg(MSG_INTERRUPT)
	s_mov_b32 m0, ttmp2
.LBB6_1861:                             ; =>This Inner Loop Header: Depth=1
	s_sethalt 5
	s_branch .LBB6_1861
.LBB6_1862:
	s_trap 2
	s_sendmsg_rtn_b32 s0, sendmsg(MSG_RTN_GET_DOORBELL)
	s_mov_b32 ttmp2, m0
	s_waitcnt lgkmcnt(0)
	s_and_b32 s0, s0, 0x3ff
	s_delay_alu instid0(SALU_CYCLE_1) | instskip(NEXT) | instid1(SALU_CYCLE_1)
	s_bitset1_b32 s0, 10
	s_mov_b32 m0, s0
	s_sendmsg sendmsg(MSG_INTERRUPT)
	s_mov_b32 m0, ttmp2
.LBB6_1863:                             ; =>This Inner Loop Header: Depth=1
	s_sethalt 5
	s_branch .LBB6_1863
.LBB6_1864:
	s_trap 2
	s_sendmsg_rtn_b32 s0, sendmsg(MSG_RTN_GET_DOORBELL)
	s_mov_b32 ttmp2, m0
	s_waitcnt lgkmcnt(0)
	s_and_b32 s0, s0, 0x3ff
	s_delay_alu instid0(SALU_CYCLE_1) | instskip(NEXT) | instid1(SALU_CYCLE_1)
	s_bitset1_b32 s0, 10
	s_mov_b32 m0, s0
	s_sendmsg sendmsg(MSG_INTERRUPT)
	s_mov_b32 m0, ttmp2
.LBB6_1865:                             ; =>This Inner Loop Header: Depth=1
	s_sethalt 5
	s_branch .LBB6_1865
.LBB6_1866:
	s_trap 2
	s_sendmsg_rtn_b32 s0, sendmsg(MSG_RTN_GET_DOORBELL)
	s_mov_b32 ttmp2, m0
	s_waitcnt lgkmcnt(0)
	s_and_b32 s0, s0, 0x3ff
	s_delay_alu instid0(SALU_CYCLE_1) | instskip(NEXT) | instid1(SALU_CYCLE_1)
	s_bitset1_b32 s0, 10
	s_mov_b32 m0, s0
	s_sendmsg sendmsg(MSG_INTERRUPT)
	s_mov_b32 m0, ttmp2
.LBB6_1867:                             ; =>This Inner Loop Header: Depth=1
	s_sethalt 5
	s_branch .LBB6_1867
.LBB6_1868:
	s_trap 2
	s_sendmsg_rtn_b32 s0, sendmsg(MSG_RTN_GET_DOORBELL)
	s_mov_b32 ttmp2, m0
	s_waitcnt lgkmcnt(0)
	s_and_b32 s0, s0, 0x3ff
	s_delay_alu instid0(SALU_CYCLE_1) | instskip(NEXT) | instid1(SALU_CYCLE_1)
	s_bitset1_b32 s0, 10
	s_mov_b32 m0, s0
	s_sendmsg sendmsg(MSG_INTERRUPT)
	s_mov_b32 m0, ttmp2
.LBB6_1869:                             ; =>This Inner Loop Header: Depth=1
	s_sethalt 5
	s_branch .LBB6_1869
.LBB6_1870:
	s_trap 2
	s_sendmsg_rtn_b32 s0, sendmsg(MSG_RTN_GET_DOORBELL)
	s_mov_b32 ttmp2, m0
	s_waitcnt lgkmcnt(0)
	s_and_b32 s0, s0, 0x3ff
	s_delay_alu instid0(SALU_CYCLE_1) | instskip(NEXT) | instid1(SALU_CYCLE_1)
	s_bitset1_b32 s0, 10
	s_mov_b32 m0, s0
	s_sendmsg sendmsg(MSG_INTERRUPT)
	s_mov_b32 m0, ttmp2
.LBB6_1871:                             ; =>This Inner Loop Header: Depth=1
	s_sethalt 5
	s_branch .LBB6_1871
.LBB6_1872:
	s_trap 2
	s_sendmsg_rtn_b32 s0, sendmsg(MSG_RTN_GET_DOORBELL)
	s_mov_b32 ttmp2, m0
	s_waitcnt lgkmcnt(0)
	s_and_b32 s0, s0, 0x3ff
	s_delay_alu instid0(SALU_CYCLE_1) | instskip(NEXT) | instid1(SALU_CYCLE_1)
	s_bitset1_b32 s0, 10
	s_mov_b32 m0, s0
	s_sendmsg sendmsg(MSG_INTERRUPT)
	s_mov_b32 m0, ttmp2
.LBB6_1873:                             ; =>This Inner Loop Header: Depth=1
	s_sethalt 5
	s_branch .LBB6_1873
.LBB6_1874:
	s_trap 2
	s_sendmsg_rtn_b32 s0, sendmsg(MSG_RTN_GET_DOORBELL)
	s_mov_b32 ttmp2, m0
	s_waitcnt lgkmcnt(0)
	s_and_b32 s0, s0, 0x3ff
	s_delay_alu instid0(SALU_CYCLE_1) | instskip(NEXT) | instid1(SALU_CYCLE_1)
	s_bitset1_b32 s0, 10
	s_mov_b32 m0, s0
	s_sendmsg sendmsg(MSG_INTERRUPT)
	s_mov_b32 m0, ttmp2
.LBB6_1875:                             ; =>This Inner Loop Header: Depth=1
	s_sethalt 5
	s_branch .LBB6_1875
.LBB6_1876:
	s_trap 2
	s_sendmsg_rtn_b32 s0, sendmsg(MSG_RTN_GET_DOORBELL)
	s_mov_b32 ttmp2, m0
	s_waitcnt lgkmcnt(0)
	s_and_b32 s0, s0, 0x3ff
	s_delay_alu instid0(SALU_CYCLE_1) | instskip(NEXT) | instid1(SALU_CYCLE_1)
	s_bitset1_b32 s0, 10
	s_mov_b32 m0, s0
	s_sendmsg sendmsg(MSG_INTERRUPT)
	s_mov_b32 m0, ttmp2
.LBB6_1877:                             ; =>This Inner Loop Header: Depth=1
	s_sethalt 5
	s_branch .LBB6_1877
.LBB6_1878:
	s_trap 2
	s_sendmsg_rtn_b32 s0, sendmsg(MSG_RTN_GET_DOORBELL)
	s_mov_b32 ttmp2, m0
	s_waitcnt lgkmcnt(0)
	s_and_b32 s0, s0, 0x3ff
	s_delay_alu instid0(SALU_CYCLE_1) | instskip(NEXT) | instid1(SALU_CYCLE_1)
	s_bitset1_b32 s0, 10
	s_mov_b32 m0, s0
	s_sendmsg sendmsg(MSG_INTERRUPT)
	s_mov_b32 m0, ttmp2
.LBB6_1879:                             ; =>This Inner Loop Header: Depth=1
	s_sethalt 5
	s_branch .LBB6_1879
.LBB6_1880:
	s_trap 2
	s_sendmsg_rtn_b32 s0, sendmsg(MSG_RTN_GET_DOORBELL)
	s_mov_b32 ttmp2, m0
	s_waitcnt lgkmcnt(0)
	s_and_b32 s0, s0, 0x3ff
	s_delay_alu instid0(SALU_CYCLE_1) | instskip(NEXT) | instid1(SALU_CYCLE_1)
	s_bitset1_b32 s0, 10
	s_mov_b32 m0, s0
	s_sendmsg sendmsg(MSG_INTERRUPT)
	s_mov_b32 m0, ttmp2
.LBB6_1881:                             ; =>This Inner Loop Header: Depth=1
	s_sethalt 5
	s_branch .LBB6_1881
.LBB6_1882:
	s_trap 2
	s_sendmsg_rtn_b32 s0, sendmsg(MSG_RTN_GET_DOORBELL)
	s_mov_b32 ttmp2, m0
	s_waitcnt lgkmcnt(0)
	s_and_b32 s0, s0, 0x3ff
	s_delay_alu instid0(SALU_CYCLE_1) | instskip(NEXT) | instid1(SALU_CYCLE_1)
	s_bitset1_b32 s0, 10
	s_mov_b32 m0, s0
	s_sendmsg sendmsg(MSG_INTERRUPT)
	s_mov_b32 m0, ttmp2
.LBB6_1883:                             ; =>This Inner Loop Header: Depth=1
	s_sethalt 5
	s_branch .LBB6_1883
.LBB6_1884:
	s_trap 2
	s_sendmsg_rtn_b32 s0, sendmsg(MSG_RTN_GET_DOORBELL)
	s_mov_b32 ttmp2, m0
	s_waitcnt lgkmcnt(0)
	s_and_b32 s0, s0, 0x3ff
	s_delay_alu instid0(SALU_CYCLE_1) | instskip(NEXT) | instid1(SALU_CYCLE_1)
	s_bitset1_b32 s0, 10
	s_mov_b32 m0, s0
	s_sendmsg sendmsg(MSG_INTERRUPT)
	s_mov_b32 m0, ttmp2
.LBB6_1885:                             ; =>This Inner Loop Header: Depth=1
	s_sethalt 5
	s_branch .LBB6_1885
.LBB6_1886:
	s_trap 2
	s_sendmsg_rtn_b32 s0, sendmsg(MSG_RTN_GET_DOORBELL)
	s_mov_b32 ttmp2, m0
	s_waitcnt lgkmcnt(0)
	s_and_b32 s0, s0, 0x3ff
	s_delay_alu instid0(SALU_CYCLE_1) | instskip(NEXT) | instid1(SALU_CYCLE_1)
	s_bitset1_b32 s0, 10
	s_mov_b32 m0, s0
	s_sendmsg sendmsg(MSG_INTERRUPT)
	s_mov_b32 m0, ttmp2
.LBB6_1887:                             ; =>This Inner Loop Header: Depth=1
	s_sethalt 5
	s_branch .LBB6_1887
.LBB6_1888:
	s_trap 2
	s_sendmsg_rtn_b32 s0, sendmsg(MSG_RTN_GET_DOORBELL)
	s_mov_b32 ttmp2, m0
	s_waitcnt lgkmcnt(0)
	s_and_b32 s0, s0, 0x3ff
	s_delay_alu instid0(SALU_CYCLE_1) | instskip(NEXT) | instid1(SALU_CYCLE_1)
	s_bitset1_b32 s0, 10
	s_mov_b32 m0, s0
	s_sendmsg sendmsg(MSG_INTERRUPT)
	s_mov_b32 m0, ttmp2
.LBB6_1889:                             ; =>This Inner Loop Header: Depth=1
	s_sethalt 5
	s_branch .LBB6_1889
.LBB6_1890:
	s_trap 2
	s_sendmsg_rtn_b32 s0, sendmsg(MSG_RTN_GET_DOORBELL)
	s_mov_b32 ttmp2, m0
	s_waitcnt lgkmcnt(0)
	s_and_b32 s0, s0, 0x3ff
	s_delay_alu instid0(SALU_CYCLE_1) | instskip(NEXT) | instid1(SALU_CYCLE_1)
	s_bitset1_b32 s0, 10
	s_mov_b32 m0, s0
	s_sendmsg sendmsg(MSG_INTERRUPT)
	s_mov_b32 m0, ttmp2
.LBB6_1891:                             ; =>This Inner Loop Header: Depth=1
	s_sethalt 5
	s_branch .LBB6_1891
.LBB6_1892:
	s_trap 2
	s_sendmsg_rtn_b32 s0, sendmsg(MSG_RTN_GET_DOORBELL)
	s_mov_b32 ttmp2, m0
	s_waitcnt lgkmcnt(0)
	s_and_b32 s0, s0, 0x3ff
	s_delay_alu instid0(SALU_CYCLE_1) | instskip(NEXT) | instid1(SALU_CYCLE_1)
	s_bitset1_b32 s0, 10
	s_mov_b32 m0, s0
	s_sendmsg sendmsg(MSG_INTERRUPT)
	s_mov_b32 m0, ttmp2
.LBB6_1893:                             ; =>This Inner Loop Header: Depth=1
	s_sethalt 5
	s_branch .LBB6_1893
.LBB6_1894:
	s_trap 2
	s_sendmsg_rtn_b32 s0, sendmsg(MSG_RTN_GET_DOORBELL)
	s_mov_b32 ttmp2, m0
	s_waitcnt lgkmcnt(0)
	s_and_b32 s0, s0, 0x3ff
	s_delay_alu instid0(SALU_CYCLE_1) | instskip(NEXT) | instid1(SALU_CYCLE_1)
	s_bitset1_b32 s0, 10
	s_mov_b32 m0, s0
	s_sendmsg sendmsg(MSG_INTERRUPT)
	s_mov_b32 m0, ttmp2
.LBB6_1895:                             ; =>This Inner Loop Header: Depth=1
	s_sethalt 5
	s_branch .LBB6_1895
.LBB6_1896:
	s_trap 2
	s_sendmsg_rtn_b32 s0, sendmsg(MSG_RTN_GET_DOORBELL)
	s_mov_b32 ttmp2, m0
	s_waitcnt lgkmcnt(0)
	s_and_b32 s0, s0, 0x3ff
	s_delay_alu instid0(SALU_CYCLE_1) | instskip(NEXT) | instid1(SALU_CYCLE_1)
	s_bitset1_b32 s0, 10
	s_mov_b32 m0, s0
	s_sendmsg sendmsg(MSG_INTERRUPT)
	s_mov_b32 m0, ttmp2
.LBB6_1897:                             ; =>This Inner Loop Header: Depth=1
	s_sethalt 5
	s_branch .LBB6_1897
.LBB6_1898:
	s_trap 2
	s_sendmsg_rtn_b32 s0, sendmsg(MSG_RTN_GET_DOORBELL)
	s_mov_b32 ttmp2, m0
	s_waitcnt lgkmcnt(0)
	s_and_b32 s0, s0, 0x3ff
	s_delay_alu instid0(SALU_CYCLE_1) | instskip(NEXT) | instid1(SALU_CYCLE_1)
	s_bitset1_b32 s0, 10
	s_mov_b32 m0, s0
	s_sendmsg sendmsg(MSG_INTERRUPT)
	s_mov_b32 m0, ttmp2
.LBB6_1899:                             ; =>This Inner Loop Header: Depth=1
	s_sethalt 5
	s_branch .LBB6_1899
.LBB6_1900:
	s_trap 2
	s_sendmsg_rtn_b32 s0, sendmsg(MSG_RTN_GET_DOORBELL)
	s_mov_b32 ttmp2, m0
	s_waitcnt lgkmcnt(0)
	s_and_b32 s0, s0, 0x3ff
	s_delay_alu instid0(SALU_CYCLE_1) | instskip(NEXT) | instid1(SALU_CYCLE_1)
	s_bitset1_b32 s0, 10
	s_mov_b32 m0, s0
	s_sendmsg sendmsg(MSG_INTERRUPT)
	s_mov_b32 m0, ttmp2
.LBB6_1901:                             ; =>This Inner Loop Header: Depth=1
	s_sethalt 5
	s_branch .LBB6_1901
.LBB6_1902:
	s_trap 2
	s_sendmsg_rtn_b32 s0, sendmsg(MSG_RTN_GET_DOORBELL)
	s_mov_b32 ttmp2, m0
	s_waitcnt lgkmcnt(0)
	s_and_b32 s0, s0, 0x3ff
	s_delay_alu instid0(SALU_CYCLE_1) | instskip(NEXT) | instid1(SALU_CYCLE_1)
	s_bitset1_b32 s0, 10
	s_mov_b32 m0, s0
	s_sendmsg sendmsg(MSG_INTERRUPT)
	s_mov_b32 m0, ttmp2
.LBB6_1903:                             ; =>This Inner Loop Header: Depth=1
	s_sethalt 5
	s_branch .LBB6_1903
.LBB6_1904:
	s_trap 2
	s_sendmsg_rtn_b32 s0, sendmsg(MSG_RTN_GET_DOORBELL)
	s_mov_b32 ttmp2, m0
	s_waitcnt lgkmcnt(0)
	s_and_b32 s0, s0, 0x3ff
	s_delay_alu instid0(SALU_CYCLE_1) | instskip(NEXT) | instid1(SALU_CYCLE_1)
	s_bitset1_b32 s0, 10
	s_mov_b32 m0, s0
	s_sendmsg sendmsg(MSG_INTERRUPT)
	s_mov_b32 m0, ttmp2
.LBB6_1905:                             ; =>This Inner Loop Header: Depth=1
	s_sethalt 5
	s_branch .LBB6_1905
.LBB6_1906:
	s_trap 2
	s_sendmsg_rtn_b32 s0, sendmsg(MSG_RTN_GET_DOORBELL)
	s_mov_b32 ttmp2, m0
	s_waitcnt lgkmcnt(0)
	s_and_b32 s0, s0, 0x3ff
	s_delay_alu instid0(SALU_CYCLE_1) | instskip(NEXT) | instid1(SALU_CYCLE_1)
	s_bitset1_b32 s0, 10
	s_mov_b32 m0, s0
	s_sendmsg sendmsg(MSG_INTERRUPT)
	s_mov_b32 m0, ttmp2
.LBB6_1907:                             ; =>This Inner Loop Header: Depth=1
	s_sethalt 5
	s_branch .LBB6_1907
.LBB6_1908:
	s_trap 2
	s_sendmsg_rtn_b32 s0, sendmsg(MSG_RTN_GET_DOORBELL)
	s_mov_b32 ttmp2, m0
	s_waitcnt lgkmcnt(0)
	s_and_b32 s0, s0, 0x3ff
	s_delay_alu instid0(SALU_CYCLE_1) | instskip(NEXT) | instid1(SALU_CYCLE_1)
	s_bitset1_b32 s0, 10
	s_mov_b32 m0, s0
	s_sendmsg sendmsg(MSG_INTERRUPT)
	s_mov_b32 m0, ttmp2
.LBB6_1909:                             ; =>This Inner Loop Header: Depth=1
	s_sethalt 5
	s_branch .LBB6_1909
.LBB6_1910:
	s_trap 2
	s_sendmsg_rtn_b32 s0, sendmsg(MSG_RTN_GET_DOORBELL)
	s_mov_b32 ttmp2, m0
	s_waitcnt lgkmcnt(0)
	s_and_b32 s0, s0, 0x3ff
	s_delay_alu instid0(SALU_CYCLE_1) | instskip(NEXT) | instid1(SALU_CYCLE_1)
	s_bitset1_b32 s0, 10
	s_mov_b32 m0, s0
	s_sendmsg sendmsg(MSG_INTERRUPT)
	s_mov_b32 m0, ttmp2
.LBB6_1911:                             ; =>This Inner Loop Header: Depth=1
	s_sethalt 5
	s_branch .LBB6_1911
.LBB6_1912:
	s_trap 2
	s_sendmsg_rtn_b32 s0, sendmsg(MSG_RTN_GET_DOORBELL)
	s_mov_b32 ttmp2, m0
	s_waitcnt lgkmcnt(0)
	s_and_b32 s0, s0, 0x3ff
	s_delay_alu instid0(SALU_CYCLE_1) | instskip(NEXT) | instid1(SALU_CYCLE_1)
	s_bitset1_b32 s0, 10
	s_mov_b32 m0, s0
	s_sendmsg sendmsg(MSG_INTERRUPT)
	s_mov_b32 m0, ttmp2
.LBB6_1913:                             ; =>This Inner Loop Header: Depth=1
	s_sethalt 5
	s_branch .LBB6_1913
.LBB6_1914:
	s_trap 2
	s_sendmsg_rtn_b32 s0, sendmsg(MSG_RTN_GET_DOORBELL)
	s_mov_b32 ttmp2, m0
	s_waitcnt lgkmcnt(0)
	s_and_b32 s0, s0, 0x3ff
	s_delay_alu instid0(SALU_CYCLE_1) | instskip(NEXT) | instid1(SALU_CYCLE_1)
	s_bitset1_b32 s0, 10
	s_mov_b32 m0, s0
	s_sendmsg sendmsg(MSG_INTERRUPT)
	s_mov_b32 m0, ttmp2
.LBB6_1915:                             ; =>This Inner Loop Header: Depth=1
	s_sethalt 5
	s_branch .LBB6_1915
.LBB6_1916:
	s_trap 2
	s_sendmsg_rtn_b32 s0, sendmsg(MSG_RTN_GET_DOORBELL)
	s_mov_b32 ttmp2, m0
	s_waitcnt lgkmcnt(0)
	s_and_b32 s0, s0, 0x3ff
	s_delay_alu instid0(SALU_CYCLE_1) | instskip(NEXT) | instid1(SALU_CYCLE_1)
	s_bitset1_b32 s0, 10
	s_mov_b32 m0, s0
	s_sendmsg sendmsg(MSG_INTERRUPT)
	s_mov_b32 m0, ttmp2
.LBB6_1917:                             ; =>This Inner Loop Header: Depth=1
	s_sethalt 5
	s_branch .LBB6_1917
.LBB6_1918:
	s_trap 2
	s_sendmsg_rtn_b32 s0, sendmsg(MSG_RTN_GET_DOORBELL)
	s_mov_b32 ttmp2, m0
	s_waitcnt lgkmcnt(0)
	s_and_b32 s0, s0, 0x3ff
	s_delay_alu instid0(SALU_CYCLE_1) | instskip(NEXT) | instid1(SALU_CYCLE_1)
	s_bitset1_b32 s0, 10
	s_mov_b32 m0, s0
	s_sendmsg sendmsg(MSG_INTERRUPT)
	s_mov_b32 m0, ttmp2
.LBB6_1919:                             ; =>This Inner Loop Header: Depth=1
	s_sethalt 5
	s_branch .LBB6_1919
.LBB6_1920:
	s_trap 2
	s_sendmsg_rtn_b32 s0, sendmsg(MSG_RTN_GET_DOORBELL)
	s_mov_b32 ttmp2, m0
	s_waitcnt lgkmcnt(0)
	s_and_b32 s0, s0, 0x3ff
	s_delay_alu instid0(SALU_CYCLE_1) | instskip(NEXT) | instid1(SALU_CYCLE_1)
	s_bitset1_b32 s0, 10
	s_mov_b32 m0, s0
	s_sendmsg sendmsg(MSG_INTERRUPT)
	s_mov_b32 m0, ttmp2
.LBB6_1921:                             ; =>This Inner Loop Header: Depth=1
	s_sethalt 5
	s_branch .LBB6_1921
.LBB6_1922:
	s_trap 2
	s_sendmsg_rtn_b32 s0, sendmsg(MSG_RTN_GET_DOORBELL)
	s_mov_b32 ttmp2, m0
	s_waitcnt lgkmcnt(0)
	s_and_b32 s0, s0, 0x3ff
	s_delay_alu instid0(SALU_CYCLE_1) | instskip(NEXT) | instid1(SALU_CYCLE_1)
	s_bitset1_b32 s0, 10
	s_mov_b32 m0, s0
	s_sendmsg sendmsg(MSG_INTERRUPT)
	s_mov_b32 m0, ttmp2
.LBB6_1923:                             ; =>This Inner Loop Header: Depth=1
	s_sethalt 5
	s_branch .LBB6_1923
.LBB6_1924:
	s_trap 2
	s_sendmsg_rtn_b32 s0, sendmsg(MSG_RTN_GET_DOORBELL)
	s_mov_b32 ttmp2, m0
	s_waitcnt lgkmcnt(0)
	s_and_b32 s0, s0, 0x3ff
	s_delay_alu instid0(SALU_CYCLE_1) | instskip(NEXT) | instid1(SALU_CYCLE_1)
	s_bitset1_b32 s0, 10
	s_mov_b32 m0, s0
	s_sendmsg sendmsg(MSG_INTERRUPT)
	s_mov_b32 m0, ttmp2
.LBB6_1925:                             ; =>This Inner Loop Header: Depth=1
	s_sethalt 5
	s_branch .LBB6_1925
.LBB6_1926:
	s_trap 2
	s_sendmsg_rtn_b32 s0, sendmsg(MSG_RTN_GET_DOORBELL)
	s_mov_b32 ttmp2, m0
	s_waitcnt lgkmcnt(0)
	s_and_b32 s0, s0, 0x3ff
	s_delay_alu instid0(SALU_CYCLE_1) | instskip(NEXT) | instid1(SALU_CYCLE_1)
	s_bitset1_b32 s0, 10
	s_mov_b32 m0, s0
	s_sendmsg sendmsg(MSG_INTERRUPT)
	s_mov_b32 m0, ttmp2
.LBB6_1927:                             ; =>This Inner Loop Header: Depth=1
	s_sethalt 5
	s_branch .LBB6_1927
.LBB6_1928:
	s_trap 2
	s_sendmsg_rtn_b32 s0, sendmsg(MSG_RTN_GET_DOORBELL)
	s_mov_b32 ttmp2, m0
	s_waitcnt lgkmcnt(0)
	s_and_b32 s0, s0, 0x3ff
	s_delay_alu instid0(SALU_CYCLE_1) | instskip(NEXT) | instid1(SALU_CYCLE_1)
	s_bitset1_b32 s0, 10
	s_mov_b32 m0, s0
	s_sendmsg sendmsg(MSG_INTERRUPT)
	s_mov_b32 m0, ttmp2
.LBB6_1929:                             ; =>This Inner Loop Header: Depth=1
	s_sethalt 5
	s_branch .LBB6_1929
.LBB6_1930:
	s_trap 2
	s_sendmsg_rtn_b32 s0, sendmsg(MSG_RTN_GET_DOORBELL)
	s_mov_b32 ttmp2, m0
	s_waitcnt lgkmcnt(0)
	s_and_b32 s0, s0, 0x3ff
	s_delay_alu instid0(SALU_CYCLE_1) | instskip(NEXT) | instid1(SALU_CYCLE_1)
	s_bitset1_b32 s0, 10
	s_mov_b32 m0, s0
	s_sendmsg sendmsg(MSG_INTERRUPT)
	s_mov_b32 m0, ttmp2
.LBB6_1931:                             ; =>This Inner Loop Header: Depth=1
	s_sethalt 5
	s_branch .LBB6_1931
.LBB6_1932:
	s_trap 2
	s_sendmsg_rtn_b32 s0, sendmsg(MSG_RTN_GET_DOORBELL)
	s_mov_b32 ttmp2, m0
	s_waitcnt lgkmcnt(0)
	s_and_b32 s0, s0, 0x3ff
	s_delay_alu instid0(SALU_CYCLE_1) | instskip(NEXT) | instid1(SALU_CYCLE_1)
	s_bitset1_b32 s0, 10
	s_mov_b32 m0, s0
	s_sendmsg sendmsg(MSG_INTERRUPT)
	s_mov_b32 m0, ttmp2
.LBB6_1933:                             ; =>This Inner Loop Header: Depth=1
	s_sethalt 5
	s_branch .LBB6_1933
.LBB6_1934:
	s_trap 2
	s_sendmsg_rtn_b32 s0, sendmsg(MSG_RTN_GET_DOORBELL)
	s_mov_b32 ttmp2, m0
	s_waitcnt lgkmcnt(0)
	s_and_b32 s0, s0, 0x3ff
	s_delay_alu instid0(SALU_CYCLE_1) | instskip(NEXT) | instid1(SALU_CYCLE_1)
	s_bitset1_b32 s0, 10
	s_mov_b32 m0, s0
	s_sendmsg sendmsg(MSG_INTERRUPT)
	s_mov_b32 m0, ttmp2
.LBB6_1935:                             ; =>This Inner Loop Header: Depth=1
	s_sethalt 5
	s_branch .LBB6_1935
.LBB6_1936:
	s_trap 2
	s_sendmsg_rtn_b32 s0, sendmsg(MSG_RTN_GET_DOORBELL)
	s_mov_b32 ttmp2, m0
	s_waitcnt lgkmcnt(0)
	s_and_b32 s0, s0, 0x3ff
	s_delay_alu instid0(SALU_CYCLE_1) | instskip(NEXT) | instid1(SALU_CYCLE_1)
	s_bitset1_b32 s0, 10
	s_mov_b32 m0, s0
	s_sendmsg sendmsg(MSG_INTERRUPT)
	s_mov_b32 m0, ttmp2
.LBB6_1937:                             ; =>This Inner Loop Header: Depth=1
	s_sethalt 5
	s_branch .LBB6_1937
.LBB6_1938:
	s_trap 2
	s_sendmsg_rtn_b32 s0, sendmsg(MSG_RTN_GET_DOORBELL)
	s_mov_b32 ttmp2, m0
	s_waitcnt lgkmcnt(0)
	s_and_b32 s0, s0, 0x3ff
	s_delay_alu instid0(SALU_CYCLE_1) | instskip(NEXT) | instid1(SALU_CYCLE_1)
	s_bitset1_b32 s0, 10
	s_mov_b32 m0, s0
	s_sendmsg sendmsg(MSG_INTERRUPT)
	s_mov_b32 m0, ttmp2
.LBB6_1939:                             ; =>This Inner Loop Header: Depth=1
	s_sethalt 5
	s_branch .LBB6_1939
.LBB6_1940:
	s_trap 2
	s_sendmsg_rtn_b32 s0, sendmsg(MSG_RTN_GET_DOORBELL)
	s_mov_b32 ttmp2, m0
	s_waitcnt lgkmcnt(0)
	s_and_b32 s0, s0, 0x3ff
	s_delay_alu instid0(SALU_CYCLE_1) | instskip(NEXT) | instid1(SALU_CYCLE_1)
	s_bitset1_b32 s0, 10
	s_mov_b32 m0, s0
	s_sendmsg sendmsg(MSG_INTERRUPT)
	s_mov_b32 m0, ttmp2
.LBB6_1941:                             ; =>This Inner Loop Header: Depth=1
	s_sethalt 5
	s_branch .LBB6_1941
.LBB6_1942:
	s_trap 2
	s_sendmsg_rtn_b32 s0, sendmsg(MSG_RTN_GET_DOORBELL)
	s_mov_b32 ttmp2, m0
	s_waitcnt lgkmcnt(0)
	s_and_b32 s0, s0, 0x3ff
	s_delay_alu instid0(SALU_CYCLE_1) | instskip(NEXT) | instid1(SALU_CYCLE_1)
	s_bitset1_b32 s0, 10
	s_mov_b32 m0, s0
	s_sendmsg sendmsg(MSG_INTERRUPT)
	s_mov_b32 m0, ttmp2
.LBB6_1943:                             ; =>This Inner Loop Header: Depth=1
	s_sethalt 5
	s_branch .LBB6_1943
.LBB6_1944:
	s_trap 2
	s_sendmsg_rtn_b32 s0, sendmsg(MSG_RTN_GET_DOORBELL)
	s_mov_b32 ttmp2, m0
	s_waitcnt lgkmcnt(0)
	s_and_b32 s0, s0, 0x3ff
	s_delay_alu instid0(SALU_CYCLE_1) | instskip(NEXT) | instid1(SALU_CYCLE_1)
	s_bitset1_b32 s0, 10
	s_mov_b32 m0, s0
	s_sendmsg sendmsg(MSG_INTERRUPT)
	s_mov_b32 m0, ttmp2
.LBB6_1945:                             ; =>This Inner Loop Header: Depth=1
	s_sethalt 5
	s_branch .LBB6_1945
.LBB6_1946:
	s_trap 2
	s_sendmsg_rtn_b32 s0, sendmsg(MSG_RTN_GET_DOORBELL)
	s_mov_b32 ttmp2, m0
	s_waitcnt lgkmcnt(0)
	s_and_b32 s0, s0, 0x3ff
	s_delay_alu instid0(SALU_CYCLE_1) | instskip(NEXT) | instid1(SALU_CYCLE_1)
	s_bitset1_b32 s0, 10
	s_mov_b32 m0, s0
	s_sendmsg sendmsg(MSG_INTERRUPT)
	s_mov_b32 m0, ttmp2
.LBB6_1947:                             ; =>This Inner Loop Header: Depth=1
	s_sethalt 5
	s_branch .LBB6_1947
.LBB6_1948:
	s_trap 2
	s_sendmsg_rtn_b32 s0, sendmsg(MSG_RTN_GET_DOORBELL)
	s_mov_b32 ttmp2, m0
	s_waitcnt lgkmcnt(0)
	s_and_b32 s0, s0, 0x3ff
	s_delay_alu instid0(SALU_CYCLE_1) | instskip(NEXT) | instid1(SALU_CYCLE_1)
	s_bitset1_b32 s0, 10
	s_mov_b32 m0, s0
	s_sendmsg sendmsg(MSG_INTERRUPT)
	s_mov_b32 m0, ttmp2
.LBB6_1949:                             ; =>This Inner Loop Header: Depth=1
	s_sethalt 5
	s_branch .LBB6_1949
.LBB6_1950:
	s_trap 2
	s_sendmsg_rtn_b32 s0, sendmsg(MSG_RTN_GET_DOORBELL)
	s_mov_b32 ttmp2, m0
	s_waitcnt lgkmcnt(0)
	s_and_b32 s0, s0, 0x3ff
	s_delay_alu instid0(SALU_CYCLE_1) | instskip(NEXT) | instid1(SALU_CYCLE_1)
	s_bitset1_b32 s0, 10
	s_mov_b32 m0, s0
	s_sendmsg sendmsg(MSG_INTERRUPT)
	s_mov_b32 m0, ttmp2
.LBB6_1951:                             ; =>This Inner Loop Header: Depth=1
	s_sethalt 5
	s_branch .LBB6_1951
.LBB6_1952:
	s_trap 2
	s_sendmsg_rtn_b32 s0, sendmsg(MSG_RTN_GET_DOORBELL)
	s_mov_b32 ttmp2, m0
	s_waitcnt lgkmcnt(0)
	s_and_b32 s0, s0, 0x3ff
	s_delay_alu instid0(SALU_CYCLE_1) | instskip(NEXT) | instid1(SALU_CYCLE_1)
	s_bitset1_b32 s0, 10
	s_mov_b32 m0, s0
	s_sendmsg sendmsg(MSG_INTERRUPT)
	s_mov_b32 m0, ttmp2
.LBB6_1953:                             ; =>This Inner Loop Header: Depth=1
	s_sethalt 5
	s_branch .LBB6_1953
.LBB6_1954:
	s_trap 2
	s_sendmsg_rtn_b32 s0, sendmsg(MSG_RTN_GET_DOORBELL)
	s_mov_b32 ttmp2, m0
	s_waitcnt lgkmcnt(0)
	s_and_b32 s0, s0, 0x3ff
	s_delay_alu instid0(SALU_CYCLE_1) | instskip(NEXT) | instid1(SALU_CYCLE_1)
	s_bitset1_b32 s0, 10
	s_mov_b32 m0, s0
	s_sendmsg sendmsg(MSG_INTERRUPT)
	s_mov_b32 m0, ttmp2
.LBB6_1955:                             ; =>This Inner Loop Header: Depth=1
	s_sethalt 5
	s_branch .LBB6_1955
.LBB6_1956:
	s_trap 2
	s_sendmsg_rtn_b32 s0, sendmsg(MSG_RTN_GET_DOORBELL)
	s_mov_b32 ttmp2, m0
	s_waitcnt lgkmcnt(0)
	s_and_b32 s0, s0, 0x3ff
	s_delay_alu instid0(SALU_CYCLE_1) | instskip(NEXT) | instid1(SALU_CYCLE_1)
	s_bitset1_b32 s0, 10
	s_mov_b32 m0, s0
	s_sendmsg sendmsg(MSG_INTERRUPT)
	s_mov_b32 m0, ttmp2
.LBB6_1957:                             ; =>This Inner Loop Header: Depth=1
	s_sethalt 5
	s_branch .LBB6_1957
.LBB6_1958:
	s_trap 2
	s_sendmsg_rtn_b32 s0, sendmsg(MSG_RTN_GET_DOORBELL)
	s_mov_b32 ttmp2, m0
	s_waitcnt lgkmcnt(0)
	s_and_b32 s0, s0, 0x3ff
	s_delay_alu instid0(SALU_CYCLE_1) | instskip(NEXT) | instid1(SALU_CYCLE_1)
	s_bitset1_b32 s0, 10
	s_mov_b32 m0, s0
	s_sendmsg sendmsg(MSG_INTERRUPT)
	s_mov_b32 m0, ttmp2
.LBB6_1959:                             ; =>This Inner Loop Header: Depth=1
	s_sethalt 5
	s_branch .LBB6_1959
.LBB6_1960:
	s_trap 2
	s_sendmsg_rtn_b32 s0, sendmsg(MSG_RTN_GET_DOORBELL)
	s_mov_b32 ttmp2, m0
	s_waitcnt lgkmcnt(0)
	s_and_b32 s0, s0, 0x3ff
	s_delay_alu instid0(SALU_CYCLE_1) | instskip(NEXT) | instid1(SALU_CYCLE_1)
	s_bitset1_b32 s0, 10
	s_mov_b32 m0, s0
	s_sendmsg sendmsg(MSG_INTERRUPT)
	s_mov_b32 m0, ttmp2
.LBB6_1961:                             ; =>This Inner Loop Header: Depth=1
	s_sethalt 5
	s_branch .LBB6_1961
.LBB6_1962:
	s_trap 2
	s_sendmsg_rtn_b32 s0, sendmsg(MSG_RTN_GET_DOORBELL)
	s_mov_b32 ttmp2, m0
	s_waitcnt lgkmcnt(0)
	s_and_b32 s0, s0, 0x3ff
	s_delay_alu instid0(SALU_CYCLE_1) | instskip(NEXT) | instid1(SALU_CYCLE_1)
	s_bitset1_b32 s0, 10
	s_mov_b32 m0, s0
	s_sendmsg sendmsg(MSG_INTERRUPT)
	s_mov_b32 m0, ttmp2
.LBB6_1963:                             ; =>This Inner Loop Header: Depth=1
	s_sethalt 5
	s_branch .LBB6_1963
.LBB6_1964:
	s_trap 2
	s_sendmsg_rtn_b32 s0, sendmsg(MSG_RTN_GET_DOORBELL)
	s_mov_b32 ttmp2, m0
	s_waitcnt lgkmcnt(0)
	s_and_b32 s0, s0, 0x3ff
	s_delay_alu instid0(SALU_CYCLE_1) | instskip(NEXT) | instid1(SALU_CYCLE_1)
	s_bitset1_b32 s0, 10
	s_mov_b32 m0, s0
	s_sendmsg sendmsg(MSG_INTERRUPT)
	s_mov_b32 m0, ttmp2
.LBB6_1965:                             ; =>This Inner Loop Header: Depth=1
	s_sethalt 5
	s_branch .LBB6_1965
.LBB6_1966:
	s_trap 2
	s_sendmsg_rtn_b32 s0, sendmsg(MSG_RTN_GET_DOORBELL)
	s_mov_b32 ttmp2, m0
	s_waitcnt lgkmcnt(0)
	s_and_b32 s0, s0, 0x3ff
	s_delay_alu instid0(SALU_CYCLE_1) | instskip(NEXT) | instid1(SALU_CYCLE_1)
	s_bitset1_b32 s0, 10
	s_mov_b32 m0, s0
	s_sendmsg sendmsg(MSG_INTERRUPT)
	s_mov_b32 m0, ttmp2
.LBB6_1967:                             ; =>This Inner Loop Header: Depth=1
	s_sethalt 5
	s_branch .LBB6_1967
.LBB6_1968:
	s_trap 2
	s_sendmsg_rtn_b32 s0, sendmsg(MSG_RTN_GET_DOORBELL)
	s_mov_b32 ttmp2, m0
	s_waitcnt lgkmcnt(0)
	s_and_b32 s0, s0, 0x3ff
	s_delay_alu instid0(SALU_CYCLE_1) | instskip(NEXT) | instid1(SALU_CYCLE_1)
	s_bitset1_b32 s0, 10
	s_mov_b32 m0, s0
	s_sendmsg sendmsg(MSG_INTERRUPT)
	s_mov_b32 m0, ttmp2
.LBB6_1969:                             ; =>This Inner Loop Header: Depth=1
	s_sethalt 5
	s_branch .LBB6_1969
.LBB6_1970:
	s_trap 2
	s_sendmsg_rtn_b32 s0, sendmsg(MSG_RTN_GET_DOORBELL)
	s_mov_b32 ttmp2, m0
	s_waitcnt lgkmcnt(0)
	s_and_b32 s0, s0, 0x3ff
	s_delay_alu instid0(SALU_CYCLE_1) | instskip(NEXT) | instid1(SALU_CYCLE_1)
	s_bitset1_b32 s0, 10
	s_mov_b32 m0, s0
	s_sendmsg sendmsg(MSG_INTERRUPT)
	s_mov_b32 m0, ttmp2
.LBB6_1971:                             ; =>This Inner Loop Header: Depth=1
	s_sethalt 5
	s_branch .LBB6_1971
.LBB6_1972:
	s_trap 2
	s_sendmsg_rtn_b32 s0, sendmsg(MSG_RTN_GET_DOORBELL)
	s_mov_b32 ttmp2, m0
	s_waitcnt lgkmcnt(0)
	s_and_b32 s0, s0, 0x3ff
	s_delay_alu instid0(SALU_CYCLE_1) | instskip(NEXT) | instid1(SALU_CYCLE_1)
	s_bitset1_b32 s0, 10
	s_mov_b32 m0, s0
	s_sendmsg sendmsg(MSG_INTERRUPT)
	s_mov_b32 m0, ttmp2
.LBB6_1973:                             ; =>This Inner Loop Header: Depth=1
	s_sethalt 5
	s_branch .LBB6_1973
.LBB6_1974:
	s_trap 2
	s_sendmsg_rtn_b32 s0, sendmsg(MSG_RTN_GET_DOORBELL)
	s_mov_b32 ttmp2, m0
	s_waitcnt lgkmcnt(0)
	s_and_b32 s0, s0, 0x3ff
	s_delay_alu instid0(SALU_CYCLE_1) | instskip(NEXT) | instid1(SALU_CYCLE_1)
	s_bitset1_b32 s0, 10
	s_mov_b32 m0, s0
	s_sendmsg sendmsg(MSG_INTERRUPT)
	s_mov_b32 m0, ttmp2
.LBB6_1975:                             ; =>This Inner Loop Header: Depth=1
	s_sethalt 5
	s_branch .LBB6_1975
.LBB6_1976:
	s_trap 2
	s_sendmsg_rtn_b32 s0, sendmsg(MSG_RTN_GET_DOORBELL)
	s_mov_b32 ttmp2, m0
	s_waitcnt lgkmcnt(0)
	s_and_b32 s0, s0, 0x3ff
	s_delay_alu instid0(SALU_CYCLE_1) | instskip(NEXT) | instid1(SALU_CYCLE_1)
	s_bitset1_b32 s0, 10
	s_mov_b32 m0, s0
	s_sendmsg sendmsg(MSG_INTERRUPT)
	s_mov_b32 m0, ttmp2
.LBB6_1977:                             ; =>This Inner Loop Header: Depth=1
	s_sethalt 5
	s_branch .LBB6_1977
.LBB6_1978:
	s_trap 2
	s_sendmsg_rtn_b32 s0, sendmsg(MSG_RTN_GET_DOORBELL)
	s_mov_b32 ttmp2, m0
	s_waitcnt lgkmcnt(0)
	s_and_b32 s0, s0, 0x3ff
	s_delay_alu instid0(SALU_CYCLE_1) | instskip(NEXT) | instid1(SALU_CYCLE_1)
	s_bitset1_b32 s0, 10
	s_mov_b32 m0, s0
	s_sendmsg sendmsg(MSG_INTERRUPT)
	s_mov_b32 m0, ttmp2
.LBB6_1979:                             ; =>This Inner Loop Header: Depth=1
	s_sethalt 5
	s_branch .LBB6_1979
.LBB6_1980:
	s_trap 2
	s_sendmsg_rtn_b32 s0, sendmsg(MSG_RTN_GET_DOORBELL)
	s_mov_b32 ttmp2, m0
	s_waitcnt lgkmcnt(0)
	s_and_b32 s0, s0, 0x3ff
	s_delay_alu instid0(SALU_CYCLE_1) | instskip(NEXT) | instid1(SALU_CYCLE_1)
	s_bitset1_b32 s0, 10
	s_mov_b32 m0, s0
	s_sendmsg sendmsg(MSG_INTERRUPT)
	s_mov_b32 m0, ttmp2
.LBB6_1981:                             ; =>This Inner Loop Header: Depth=1
	s_sethalt 5
	s_branch .LBB6_1981
.LBB6_1982:
	s_trap 2
	s_sendmsg_rtn_b32 s0, sendmsg(MSG_RTN_GET_DOORBELL)
	s_mov_b32 ttmp2, m0
	s_waitcnt lgkmcnt(0)
	s_and_b32 s0, s0, 0x3ff
	s_delay_alu instid0(SALU_CYCLE_1) | instskip(NEXT) | instid1(SALU_CYCLE_1)
	s_bitset1_b32 s0, 10
	s_mov_b32 m0, s0
	s_sendmsg sendmsg(MSG_INTERRUPT)
	s_mov_b32 m0, ttmp2
.LBB6_1983:                             ; =>This Inner Loop Header: Depth=1
	s_sethalt 5
	s_branch .LBB6_1983
.LBB6_1984:
	s_trap 2
	s_sendmsg_rtn_b32 s0, sendmsg(MSG_RTN_GET_DOORBELL)
	s_mov_b32 ttmp2, m0
	s_waitcnt lgkmcnt(0)
	s_and_b32 s0, s0, 0x3ff
	s_delay_alu instid0(SALU_CYCLE_1) | instskip(NEXT) | instid1(SALU_CYCLE_1)
	s_bitset1_b32 s0, 10
	s_mov_b32 m0, s0
	s_sendmsg sendmsg(MSG_INTERRUPT)
	s_mov_b32 m0, ttmp2
.LBB6_1985:                             ; =>This Inner Loop Header: Depth=1
	s_sethalt 5
	s_branch .LBB6_1985
.Lfunc_end6:
	.size	_ZN12_GLOBAL__N_17runRingIm14FuncSumPostDivImE11ProtoSimpleILi2ELi2ELi0ELi4ELi0ELi0EELi0ELi0ELi4ELi0EEEviiP15ncclDevWorkColl, .Lfunc_end6-_ZN12_GLOBAL__N_17runRingIm14FuncSumPostDivImE11ProtoSimpleILi2ELi2ELi0ELi4ELi0ELi0EELi0ELi0ELi4ELi0EEEviiP15ncclDevWorkColl
                                        ; -- End function
	.section	.AMDGPU.csdata,"",@progbits
; Function info:
; codeLenInByte = 93092
; NumSgprs: 49
; NumVgprs: 184
; ScratchSize: 144
; MemoryBound: 1
	.text
	.p2align	2                               ; -- Begin function _Z54ncclDevFunc_AllReduce_RING_SIMPLE_SumPostDiv_u64_0_0_4v
	.type	_Z54ncclDevFunc_AllReduce_RING_SIMPLE_SumPostDiv_u64_0_0_4v,@function
_Z54ncclDevFunc_AllReduce_RING_SIMPLE_SumPostDiv_u64_0_0_4v: ; @_Z54ncclDevFunc_AllReduce_RING_SIMPLE_SumPostDiv_u64_0_0_4v
; %bb.0:
	s_waitcnt vmcnt(0) expcnt(0) lgkmcnt(0)
	s_mov_b32 s0, s33
	s_mov_b32 s33, s32
	s_or_saveexec_b32 s1, -1
	scratch_store_b32 off, v42, s33 offset:16 ; 4-byte Folded Spill
	s_mov_b32 exec_lo, s1
	v_writelane_b32 v42, s0, 21
	s_add_i32 s32, s32, 32
	s_clause 0x3
	scratch_store_b32 off, v40, s33 offset:12
	; meta instruction
	scratch_store_b32 off, v41, s33 offset:8
	; meta instruction
	;; [unrolled: 2-line block ×3, first 2 shown]
	scratch_store_b32 off, v74, s33
	v_writelane_b32 v42, s34, 0
	v_writelane_b32 v42, s35, 1
	;; [unrolled: 1-line block ×21, first 2 shown]
	s_cbranch_execnz .LBB7_7
; %bb.1:
	ds_load_b32 v0, v0
	v_and_b32_e32 v40, 0x3ff, v31
	s_mov_b32 s0, exec_lo
	s_waitcnt lgkmcnt(0)
	s_delay_alu instid0(VALU_DEP_1)
	v_cmpx_lt_i32_e64 v40, v0
	s_cbranch_execz .LBB7_9
; %bb.2:
	s_load_b32 s1, s[8:9], 0x0
	v_mov_b32_e32 v1, 0
	s_waitcnt lgkmcnt(0)
	s_cmp_lt_u32 s12, s1
	s_cselect_b32 s1, 12, 18
	s_delay_alu instid0(SALU_CYCLE_1)
	s_add_u32 s2, s8, s1
	s_addc_u32 s3, s9, 0
	s_mov_b32 s1, 0
	global_load_u16 v1, v1, s[2:3]
	s_cbranch_execnz .LBB7_24
; %bb.3:
	ds_load_b32 v2, v0
	v_mov_b32_e32 v3, v40
                                        ; implicit-def: $vgpr4
	s_waitcnt vmcnt(0) lgkmcnt(0)
	v_mul_lo_u32 v2, v2, v1
	s_branch .LBB7_5
	.p2align	6
.LBB7_4:                                ;   in Loop: Header=BB7_5 Depth=1
	s_or_b32 exec_lo, exec_lo, s2
	v_add_nc_u32_e32 v3, v3, v1
	v_add_nc_u32_e32 v4, v4, v2
	s_delay_alu instid0(VALU_DEP_2) | instskip(SKIP_1) | instid1(SALU_CYCLE_1)
	v_cmp_ge_i32_e32 vcc_lo, v3, v0
	s_or_b32 s1, vcc_lo, s1
	s_and_not1_b32 exec_lo, exec_lo, s1
	s_cbranch_execz .LBB7_9
.LBB7_5:                                ; =>This Inner Loop Header: Depth=1
	ds_load_b32 v5, v4
	s_mov_b32 s2, exec_lo
	s_waitcnt lgkmcnt(0)
	v_and_b32_e32 v5, 0x1000000, v5
	s_delay_alu instid0(VALU_DEP_1)
	v_cmpx_ne_u32_e32 0, v5
	s_cbranch_execz .LBB7_4
; %bb.6:                                ;   in Loop: Header=BB7_5 Depth=1
	ds_load_b64 v[5:6], v4 offset:104
	s_waitcnt lgkmcnt(0)
	flat_load_b64 v[5:6], v[5:6]
	s_waitcnt vmcnt(0) lgkmcnt(0)
	ds_store_b64 v4, v[5:6] offset:104
	s_branch .LBB7_4
.LBB7_7:
	s_trap 2
	s_sendmsg_rtn_b32 s0, sendmsg(MSG_RTN_GET_DOORBELL)
	s_mov_b32 ttmp2, m0
	s_waitcnt lgkmcnt(0)
	s_and_b32 s0, s0, 0x3ff
	s_delay_alu instid0(SALU_CYCLE_1) | instskip(NEXT) | instid1(SALU_CYCLE_1)
	s_bitset1_b32 s0, 10
	s_mov_b32 m0, s0
	s_sendmsg sendmsg(MSG_INTERRUPT)
	s_mov_b32 m0, ttmp2
.LBB7_8:                                ; =>This Inner Loop Header: Depth=1
	s_sethalt 5
	s_branch .LBB7_8
.LBB7_9:
	s_or_b32 exec_lo, exec_lo, s0
	s_waitcnt lgkmcnt(0)
	s_waitcnt_vscnt null, 0x0
	s_barrier
	buffer_gl0_inv
	s_cbranch_execnz .LBB7_22
; %bb.10:
	ds_load_b32 v0, v0
	s_waitcnt lgkmcnt(0)
	v_cmp_gt_i32_e32 vcc_lo, 1, v0
	s_cbranch_vccnz .LBB7_21
; %bb.11:
	s_mov_b32 s52, 0
	s_mov_b64 s[50:51], src_shared_base
.LBB7_12:                               ; =>This Inner Loop Header: Depth=1
	s_cbranch_execnz .LBB7_26
; %bb.13:                               ;   in Loop: Header=BB7_12 Depth=1
	ds_load_b32 v0, v0
	s_cmp_eq_u32 s52, 0
	s_cbranch_scc1 .LBB7_17
; %bb.14:                               ;   in Loop: Header=BB7_12 Depth=1
	s_cbranch_execnz .LBB7_30
; %bb.15:                               ;   in Loop: Header=BB7_12 Depth=1
	s_waitcnt lgkmcnt(0)
	ds_load_b32 v1, v0
	s_waitcnt lgkmcnt(0)
	v_xor_b32_e32 v1, v1, v0
	s_delay_alu instid0(VALU_DEP_1) | instskip(NEXT) | instid1(VALU_DEP_1)
	v_and_b32_e32 v1, 0xff0000, v1
	v_cmp_eq_u32_e32 vcc_lo, 0, v1
	s_cbranch_vccnz .LBB7_17
; %bb.16:                               ;   in Loop: Header=BB7_12 Depth=1
	s_waitcnt_vscnt null, 0x0
	s_barrier
	buffer_gl0_inv
	ds_load_b32 v0, v0
.LBB7_17:                               ;   in Loop: Header=BB7_12 Depth=1
	s_waitcnt lgkmcnt(0)
	v_lshrrev_b32_e32 v0, 11, v0
	s_mov_b32 s50, exec_lo
	s_delay_alu instid0(VALU_DEP_1) | instskip(NEXT) | instid1(VALU_DEP_1)
	v_and_b32_e32 v1, 0x1fe0, v0
	v_cmpx_lt_u32_e64 v40, v1
	s_cbranch_execz .LBB7_19
; %bb.18:                               ;   in Loop: Header=BB7_12 Depth=1
	v_dual_mov_b32 v41, v31 :: v_dual_mov_b32 v0, v40
	v_mov_b32_e32 v3, s51
	s_getpc_b64 s[0:1]
	s_add_u32 s0, s0, _ZN12_GLOBAL__N_17runRingIm14FuncSumPostDivImE11ProtoSimpleILi2ELi2ELi0ELi4ELi0ELi0EELi0ELi0ELi4ELi0EEEviiP15ncclDevWorkColl@rel32@lo+4
	s_addc_u32 s1, s1, _ZN12_GLOBAL__N_17runRingIm14FuncSumPostDivImE11ProtoSimpleILi2ELi2ELi0ELi4ELi0ELi0EELi0ELi0ELi4ELi0EEEviiP15ncclDevWorkColl@rel32@hi+12
	s_mov_b64 s[48:49], s[8:9]
	s_mov_b32 s47, s12
	s_swappc_b64 s[30:31], s[0:1]
	v_mov_b32_e32 v31, v41
	s_mov_b32 s12, s47
	s_mov_b64 s[8:9], s[48:49]
.LBB7_19:                               ;   in Loop: Header=BB7_12 Depth=1
	s_or_b32 exec_lo, exec_lo, s50
	s_cbranch_execnz .LBB7_28
; %bb.20:                               ;   in Loop: Header=BB7_12 Depth=1
	ds_load_b32 v0, v0
	s_add_i32 s52, s52, 1
	s_waitcnt lgkmcnt(0)
	v_cmp_lt_i32_e32 vcc_lo, s52, v0
	s_cbranch_vccnz .LBB7_12
.LBB7_21:
	s_clause 0x3
	scratch_load_b32 v74, off, s33
	scratch_load_b32 v73, off, s33 offset:4
	scratch_load_b32 v41, off, s33 offset:8
	;; [unrolled: 1-line block ×3, first 2 shown]
	v_readlane_b32 s30, v42, 19
	v_readlane_b32 s31, v42, 20
	;; [unrolled: 1-line block ×22, first 2 shown]
	s_or_saveexec_b32 s1, -1
	scratch_load_b32 v42, off, s33 offset:16 ; 4-byte Folded Reload
	s_mov_b32 exec_lo, s1
	s_addk_i32 s32, 0xffe0
	s_mov_b32 s33, s0
	s_waitcnt vmcnt(0)
	s_setpc_b64 s[30:31]
.LBB7_22:
	s_trap 2
	s_sendmsg_rtn_b32 s0, sendmsg(MSG_RTN_GET_DOORBELL)
	s_mov_b32 ttmp2, m0
	s_waitcnt lgkmcnt(0)
	s_and_b32 s0, s0, 0x3ff
	s_delay_alu instid0(SALU_CYCLE_1) | instskip(NEXT) | instid1(SALU_CYCLE_1)
	s_bitset1_b32 s0, 10
	s_mov_b32 m0, s0
	s_sendmsg sendmsg(MSG_INTERRUPT)
	s_mov_b32 m0, ttmp2
.LBB7_23:                               ; =>This Inner Loop Header: Depth=1
	s_sethalt 5
	s_branch .LBB7_23
.LBB7_24:
	s_trap 2
	s_sendmsg_rtn_b32 s0, sendmsg(MSG_RTN_GET_DOORBELL)
	s_mov_b32 ttmp2, m0
	s_waitcnt lgkmcnt(0)
	s_and_b32 s0, s0, 0x3ff
	s_delay_alu instid0(SALU_CYCLE_1) | instskip(NEXT) | instid1(SALU_CYCLE_1)
	s_bitset1_b32 s0, 10
	s_mov_b32 m0, s0
	s_sendmsg sendmsg(MSG_INTERRUPT)
	s_mov_b32 m0, ttmp2
.LBB7_25:                               ; =>This Inner Loop Header: Depth=1
	s_sethalt 5
	s_branch .LBB7_25
.LBB7_26:
	s_trap 2
	s_sendmsg_rtn_b32 s0, sendmsg(MSG_RTN_GET_DOORBELL)
	s_mov_b32 ttmp2, m0
	s_waitcnt lgkmcnt(0)
	s_and_b32 s0, s0, 0x3ff
	s_delay_alu instid0(SALU_CYCLE_1) | instskip(NEXT) | instid1(SALU_CYCLE_1)
	s_bitset1_b32 s0, 10
	s_mov_b32 m0, s0
	s_sendmsg sendmsg(MSG_INTERRUPT)
	s_mov_b32 m0, ttmp2
.LBB7_27:                               ; =>This Inner Loop Header: Depth=1
	s_sethalt 5
	s_branch .LBB7_27
.LBB7_28:
	s_trap 2
	s_sendmsg_rtn_b32 s0, sendmsg(MSG_RTN_GET_DOORBELL)
	s_mov_b32 ttmp2, m0
	s_waitcnt lgkmcnt(0)
	s_and_b32 s0, s0, 0x3ff
	s_delay_alu instid0(SALU_CYCLE_1) | instskip(NEXT) | instid1(SALU_CYCLE_1)
	s_bitset1_b32 s0, 10
	s_mov_b32 m0, s0
	s_sendmsg sendmsg(MSG_INTERRUPT)
	s_mov_b32 m0, ttmp2
.LBB7_29:                               ; =>This Inner Loop Header: Depth=1
	s_sethalt 5
	s_branch .LBB7_29
.LBB7_30:
	s_trap 2
	s_sendmsg_rtn_b32 s0, sendmsg(MSG_RTN_GET_DOORBELL)
	s_mov_b32 ttmp2, m0
	s_waitcnt lgkmcnt(0)
	s_and_b32 s0, s0, 0x3ff
	s_delay_alu instid0(SALU_CYCLE_1) | instskip(NEXT) | instid1(SALU_CYCLE_1)
	s_bitset1_b32 s0, 10
	s_mov_b32 m0, s0
	s_sendmsg sendmsg(MSG_INTERRUPT)
	s_mov_b32 m0, ttmp2
.LBB7_31:                               ; =>This Inner Loop Header: Depth=1
	s_sethalt 5
	s_branch .LBB7_31
.Lfunc_end7:
	.size	_Z54ncclDevFunc_AllReduce_RING_SIMPLE_SumPostDiv_u64_0_0_4v, .Lfunc_end7-_Z54ncclDevFunc_AllReduce_RING_SIMPLE_SumPostDiv_u64_0_0_4v
                                        ; -- End function
	.section	.AMDGPU.csdata,"",@progbits
; Function info:
; codeLenInByte = 1296
; NumSgprs: 55
; NumVgprs: 184
; ScratchSize: 176
; MemoryBound: 0
	.text
	.p2alignl 7, 3214868480
	.fill 96, 4, 3214868480
	.type	__const.__assert_fail.fmt,@object ; @__const.__assert_fail.fmt
	.section	.rodata.str1.16,"aMS",@progbits,1
	.p2align	4, 0x0
__const.__assert_fail.fmt:
	.asciz	"%s:%u: %s: Device-side assertion `%s' failed.\n"
	.size	__const.__assert_fail.fmt, 47

	.type	.str.1,@object                  ; @.str.1
	.section	.rodata.str1.1,"aMS",@progbits,1
.str.1:
	.asciz	"2*(nrecv+nsend) <= nthreads"
	.size	.str.1, 28

	.type	.str.2,@object                  ; @.str.2
.str.2:
	.asciz	"/root/src/amdgpu-assembly/repos/ROCm__rccl/hipify/src/device/prims_simple.h"
	.size	.str.2, 76

	.type	__PRETTY_FUNCTION__._ZN10PrimitivesIm14FuncSumPostDivImE12FanSymmetricILi1EELi0E11ProtoSimpleILi2ELi2ELi0ELi1ELi0ELi0EELi0ELb0ELi0ELi0ELi0EEC2EiiPKiS8_PKvPvmhhhP15ncclDevWorkCollP14ncclDevWorkP2pii,@object ; @__PRETTY_FUNCTION__._ZN10PrimitivesIm14FuncSumPostDivImE12FanSymmetricILi1EELi0E11ProtoSimpleILi2ELi2ELi0ELi1ELi0ELi0EELi0ELb0ELi0ELi0ELi0EEC2EiiPKiS8_PKvPvmhhhP15ncclDevWorkCollP14ncclDevWorkP2pii
__PRETTY_FUNCTION__._ZN10PrimitivesIm14FuncSumPostDivImE12FanSymmetricILi1EELi0E11ProtoSimpleILi2ELi2ELi0ELi1ELi0ELi0EELi0ELb0ELi0ELi0ELi0EEC2EiiPKiS8_PKvPvmhhhP15ncclDevWorkCollP14ncclDevWorkP2pii:
	.asciz	"Primitives<unsigned long, FuncSumPostDiv<unsigned long>, FanSymmetric<1>, 0, ProtoSimple<2, 2, 0, 1>, 0>::Primitives(int, int, const int *, const int *, const void *, void *, uint64_t, uint8_t, uint8_t, uint8_t, struct ncclDevWorkColl *, struct ncclDevWorkP2p *, int, int) [T = unsigned long, RedOp = FuncSumPostDiv<unsigned long>, Fan = FanSymmetric<1>, Direct = 0, Proto = ProtoSimple<2, 2, 0, 1>, P2p = 0, isNetOffload = false, Metadata = 0, Pipeline = 0, useAcc = 0]"
	.size	__PRETTY_FUNCTION__._ZN10PrimitivesIm14FuncSumPostDivImE12FanSymmetricILi1EELi0E11ProtoSimpleILi2ELi2ELi0ELi1ELi0ELi0EELi0ELb0ELi0ELi0ELi0EEC2EiiPKiS8_PKvPvmhhhP15ncclDevWorkCollP14ncclDevWorkP2pii, 471

	.type	__PRETTY_FUNCTION__._ZN10PrimitivesIm14FuncSumPostDivImE12FanSymmetricILi1EELi0E11ProtoSimpleILi2ELi2ELi0ELi2ELi0ELi0EELi0ELb0ELi0ELi0ELi0EEC2EiiPKiS8_PKvPvmhhhP15ncclDevWorkCollP14ncclDevWorkP2pii,@object ; @__PRETTY_FUNCTION__._ZN10PrimitivesIm14FuncSumPostDivImE12FanSymmetricILi1EELi0E11ProtoSimpleILi2ELi2ELi0ELi2ELi0ELi0EELi0ELb0ELi0ELi0ELi0EEC2EiiPKiS8_PKvPvmhhhP15ncclDevWorkCollP14ncclDevWorkP2pii
__PRETTY_FUNCTION__._ZN10PrimitivesIm14FuncSumPostDivImE12FanSymmetricILi1EELi0E11ProtoSimpleILi2ELi2ELi0ELi2ELi0ELi0EELi0ELb0ELi0ELi0ELi0EEC2EiiPKiS8_PKvPvmhhhP15ncclDevWorkCollP14ncclDevWorkP2pii:
	.asciz	"Primitives<unsigned long, FuncSumPostDiv<unsigned long>, FanSymmetric<1>, 0, ProtoSimple<2, 2, 0, 2>, 0>::Primitives(int, int, const int *, const int *, const void *, void *, uint64_t, uint8_t, uint8_t, uint8_t, struct ncclDevWorkColl *, struct ncclDevWorkP2p *, int, int) [T = unsigned long, RedOp = FuncSumPostDiv<unsigned long>, Fan = FanSymmetric<1>, Direct = 0, Proto = ProtoSimple<2, 2, 0, 2>, P2p = 0, isNetOffload = false, Metadata = 0, Pipeline = 0, useAcc = 0]"
	.size	__PRETTY_FUNCTION__._ZN10PrimitivesIm14FuncSumPostDivImE12FanSymmetricILi1EELi0E11ProtoSimpleILi2ELi2ELi0ELi2ELi0ELi0EELi0ELb0ELi0ELi0ELi0EEC2EiiPKiS8_PKvPvmhhhP15ncclDevWorkCollP14ncclDevWorkP2pii, 471

	.type	__PRETTY_FUNCTION__._ZN10PrimitivesIm14FuncSumPostDivImE12FanSymmetricILi1EELi0E11ProtoSimpleILi2ELi2ELi0ELi4ELi0ELi0EELi0ELb0ELi0ELi0ELi0EEC2EiiPKiS8_PKvPvmhhhP15ncclDevWorkCollP14ncclDevWorkP2pii,@object ; @__PRETTY_FUNCTION__._ZN10PrimitivesIm14FuncSumPostDivImE12FanSymmetricILi1EELi0E11ProtoSimpleILi2ELi2ELi0ELi4ELi0ELi0EELi0ELb0ELi0ELi0ELi0EEC2EiiPKiS8_PKvPvmhhhP15ncclDevWorkCollP14ncclDevWorkP2pii
__PRETTY_FUNCTION__._ZN10PrimitivesIm14FuncSumPostDivImE12FanSymmetricILi1EELi0E11ProtoSimpleILi2ELi2ELi0ELi4ELi0ELi0EELi0ELb0ELi0ELi0ELi0EEC2EiiPKiS8_PKvPvmhhhP15ncclDevWorkCollP14ncclDevWorkP2pii:
	.asciz	"Primitives<unsigned long, FuncSumPostDiv<unsigned long>, FanSymmetric<1>, 0, ProtoSimple<2, 2, 0, 4>, 0>::Primitives(int, int, const int *, const int *, const void *, void *, uint64_t, uint8_t, uint8_t, uint8_t, struct ncclDevWorkColl *, struct ncclDevWorkP2p *, int, int) [T = unsigned long, RedOp = FuncSumPostDiv<unsigned long>, Fan = FanSymmetric<1>, Direct = 0, Proto = ProtoSimple<2, 2, 0, 4>, P2p = 0, isNetOffload = false, Metadata = 0, Pipeline = 0, useAcc = 0]"
	.size	__PRETTY_FUNCTION__._ZN10PrimitivesIm14FuncSumPostDivImE12FanSymmetricILi1EELi0E11ProtoSimpleILi2ELi2ELi0ELi4ELi0ELi0EELi0ELb0ELi0ELi0ELi0EEC2EiiPKiS8_PKvPvmhhhP15ncclDevWorkCollP14ncclDevWorkP2pii, 471

	.type	__hip_cuid_b4bb206776427e56,@object ; @__hip_cuid_b4bb206776427e56
	.section	.bss,"aw",@nobits
	.globl	__hip_cuid_b4bb206776427e56
__hip_cuid_b4bb206776427e56:
	.byte	0                               ; 0x0
	.size	__hip_cuid_b4bb206776427e56, 1

	.ident	"AMD clang version 19.0.0git (https://github.com/RadeonOpenCompute/llvm-project roc-6.4.0 25133 c7fe45cf4b819c5991fe208aaa96edf142730f1d)"
	.section	".note.GNU-stack","",@progbits
	.addrsig
	.addrsig_sym _Z54ncclDevFunc_AllReduce_RING_SIMPLE_SumPostDiv_u64_0_0_1v
	.addrsig_sym _Z54ncclDevFunc_AllReduce_RING_SIMPLE_SumPostDiv_u64_0_0_2v
	.addrsig_sym _Z54ncclDevFunc_AllReduce_RING_SIMPLE_SumPostDiv_u64_0_0_4v
	.addrsig_sym ncclShmem
	.addrsig_sym __hip_cuid_b4bb206776427e56
	.amdgpu_metadata
---
amdhsa.kernels:  []
amdhsa.target:   amdgcn-amd-amdhsa--gfx1100
amdhsa.version:
  - 1
  - 2
...

	.end_amdgpu_metadata
